;; amdgpu-corpus repo=ROCm/rocFFT kind=compiled arch=gfx906 opt=O3
	.text
	.amdgcn_target "amdgcn-amd-amdhsa--gfx906"
	.amdhsa_code_object_version 6
	.protected	bluestein_single_back_len1053_dim1_dp_op_CI_CI ; -- Begin function bluestein_single_back_len1053_dim1_dp_op_CI_CI
	.globl	bluestein_single_back_len1053_dim1_dp_op_CI_CI
	.p2align	8
	.type	bluestein_single_back_len1053_dim1_dp_op_CI_CI,@function
bluestein_single_back_len1053_dim1_dp_op_CI_CI: ; @bluestein_single_back_len1053_dim1_dp_op_CI_CI
; %bb.0:
	s_load_dwordx4 s[16:19], s[4:5], 0x28
	s_mov_b64 s[54:55], s[2:3]
	v_mul_u32_u24_e32 v1, 0x231, v0
	s_mov_b64 s[52:53], s[0:1]
	v_add_u32_sdwa v4, s6, v1 dst_sel:DWORD dst_unused:UNUSED_PAD src0_sel:DWORD src1_sel:WORD_1
	v_mov_b32_e32 v5, 0
	s_add_u32 s52, s52, s7
	s_waitcnt lgkmcnt(0)
	v_cmp_gt_u64_e32 vcc, s[16:17], v[4:5]
	s_addc_u32 s53, s53, 0
	s_and_saveexec_b64 s[0:1], vcc
	s_cbranch_execz .LBB0_10
; %bb.1:
	s_load_dwordx4 s[0:3], s[4:5], 0x18
	s_load_dwordx4 s[12:15], s[4:5], 0x0
	v_mov_b32_e32 v5, v4
	v_mov_b32_e32 v28, 0xffffdb70
                                        ; implicit-def: $vgpr144_vgpr145
                                        ; implicit-def: $vgpr148_vgpr149
                                        ; implicit-def: $vgpr152_vgpr153
                                        ; implicit-def: $vgpr156_vgpr157
	s_waitcnt lgkmcnt(0)
	s_load_dwordx4 s[8:11], s[0:1], 0x0
	s_movk_i32 s0, 0x75
	v_mul_lo_u16_sdwa v1, v1, s0 dst_sel:DWORD dst_unused:UNUSED_PAD src0_sel:WORD_1 src1_sel:DWORD
	v_sub_u16_e32 v208, v0, v1
	buffer_store_dword v5, off, s[52:55], 0 ; 4-byte Folded Spill
	s_nop 0
	buffer_store_dword v6, off, s[52:55], 0 offset:4 ; 4-byte Folded Spill
	s_waitcnt lgkmcnt(0)
	v_mad_u64_u32 v[0:1], s[6:7], s10, v4, 0
	v_mad_u64_u32 v[2:3], s[6:7], s8, v208, 0
	v_lshlrev_b32_e32 v255, 4, v208
	s_mul_i32 s1, s9, 0x15f0
	v_mad_u64_u32 v[4:5], s[6:7], s11, v4, v[1:2]
	v_mad_u64_u32 v[5:6], s[6:7], s9, v208, v[3:4]
	v_mov_b32_e32 v1, v4
	v_lshlrev_b64 v[0:1], 4, v[0:1]
	v_mov_b32_e32 v6, s19
	v_mov_b32_e32 v3, v5
	v_add_co_u32_e32 v4, vcc, s18, v0
	v_addc_co_u32_e32 v5, vcc, v6, v1, vcc
	v_lshlrev_b64 v[0:1], 4, v[2:3]
	s_mul_hi_u32 s6, s8, 0x15f0
	v_add_co_u32_e32 v8, vcc, v4, v0
	v_addc_co_u32_e32 v9, vcc, v5, v1, vcc
	v_mov_b32_e32 v0, s13
	v_add_co_u32_e32 v26, vcc, s12, v255
	v_addc_co_u32_e32 v27, vcc, 0, v0, vcc
	s_add_i32 s1, s6, s1
	s_mul_i32 s6, s8, 0x15f0
	v_mov_b32_e32 v0, s1
	v_add_co_u32_e32 v10, vcc, s6, v8
	v_addc_co_u32_e32 v11, vcc, v9, v0, vcc
	s_movk_i32 s7, 0x1000
	v_add_co_u32_e32 v20, vcc, s7, v26
	v_addc_co_u32_e32 v21, vcc, 0, v27, vcc
	global_load_dwordx4 v[0:3], v[8:9], off
	global_load_dwordx4 v[4:7], v[10:11], off
	v_mov_b32_e32 v8, s1
	v_add_co_u32_e32 v12, vcc, s6, v10
	v_addc_co_u32_e32 v13, vcc, v11, v8, vcc
	v_mad_u64_u32 v[16:17], s[10:11], s8, v28, v[12:13]
	s_movk_i32 s7, 0x2000
	v_add_co_u32_e32 v32, vcc, s7, v26
	s_mul_i32 s7, s9, 0xffffdb70
	s_sub_i32 s7, s7, s8
	v_addc_co_u32_e32 v33, vcc, 0, v27, vcc
	v_add_u32_e32 v17, s7, v17
	global_load_dwordx4 v[8:11], v[12:13], off
	global_load_dwordx4 v[52:55], v[32:33], off offset:3040
	s_nop 0
	global_load_dwordx4 v[12:15], v[16:17], off
	global_load_dwordx4 v[40:43], v255, s[12:13]
	global_load_dwordx4 v[60:63], v255, s[12:13] offset:1872
	v_mov_b32_e32 v18, s1
	v_add_co_u32_e32 v22, vcc, s6, v16
	v_addc_co_u32_e32 v23, vcc, v17, v18, vcc
	global_load_dwordx4 v[16:19], v[22:23], off
	global_load_dwordx4 v[76:79], v[20:21], off offset:1520
	global_load_dwordx4 v[56:59], v[20:21], off offset:3392
	v_mov_b32_e32 v20, s1
	v_add_co_u32_e32 v24, vcc, s6, v22
	v_addc_co_u32_e32 v25, vcc, v23, v20, vcc
	v_mad_u64_u32 v[28:29], s[8:9], s8, v28, v[24:25]
	s_movk_i32 s10, 0x3000
	v_add_co_u32_e32 v36, vcc, s10, v26
	v_addc_co_u32_e32 v37, vcc, 0, v27, vcc
	v_add_u32_e32 v29, s7, v29
	v_mov_b32_e32 v30, s1
	v_add_co_u32_e32 v34, vcc, s6, v28
	v_addc_co_u32_e32 v35, vcc, v29, v30, vcc
	global_load_dwordx4 v[20:23], v[24:25], off
	global_load_dwordx4 v[72:75], v[36:37], off offset:816
	s_nop 0
	global_load_dwordx4 v[24:27], v[28:29], off
	global_load_dwordx4 v[68:71], v255, s[12:13] offset:3744
	s_nop 0
	global_load_dwordx4 v[28:31], v[34:35], off
	global_load_dwordx4 v[64:67], v[32:33], off offset:1168
	v_mov_b32_e32 v32, s1
	v_add_co_u32_e32 v38, vcc, s6, v34
	v_addc_co_u32_e32 v39, vcc, v35, v32, vcc
	global_load_dwordx4 v[32:35], v[38:39], off
	global_load_dwordx4 v[80:83], v[36:37], off offset:2688
	s_mov_b32 s7, 0xbfebb67a
	s_waitcnt vmcnt(12)
	v_mul_f64 v[36:37], v[2:3], v[42:43]
	v_mul_f64 v[38:39], v[0:1], v[42:43]
	s_waitcnt vmcnt(11)
	v_mul_f64 v[44:45], v[14:15], v[62:63]
	v_mul_f64 v[46:47], v[12:13], v[62:63]
	s_waitcnt vmcnt(8)
	v_mul_f64 v[48:49], v[18:19], v[58:59]
	v_fma_f64 v[0:1], v[0:1], v[40:41], v[36:37]
	buffer_store_dword v40, off, s[52:55], 0 offset:136 ; 4-byte Folded Spill
	s_nop 0
	buffer_store_dword v41, off, s[52:55], 0 offset:140 ; 4-byte Folded Spill
	buffer_store_dword v42, off, s[52:55], 0 offset:144 ; 4-byte Folded Spill
	;; [unrolled: 1-line block ×3, first 2 shown]
	v_mul_f64 v[36:37], v[6:7], v[78:79]
	s_load_dwordx4 s[8:11], s[2:3], 0x0
	v_mul_f64 v[42:43], v[8:9], v[54:55]
	v_mul_f64 v[50:51], v[16:17], v[58:59]
	s_movk_i32 s2, 0xab
	v_fma_f64 v[2:3], v[2:3], v[40:41], -v[38:39]
	v_mul_f64 v[40:41], v[10:11], v[54:55]
	v_mul_f64 v[38:39], v[4:5], v[78:79]
	ds_write_b128 v255, v[0:3]
	v_fma_f64 v[0:1], v[4:5], v[76:77], v[36:37]
	buffer_store_dword v76, off, s[52:55], 0 offset:104 ; 4-byte Folded Spill
	s_nop 0
	buffer_store_dword v77, off, s[52:55], 0 offset:108 ; 4-byte Folded Spill
	buffer_store_dword v78, off, s[52:55], 0 offset:112 ; 4-byte Folded Spill
	buffer_store_dword v79, off, s[52:55], 0 offset:116 ; 4-byte Folded Spill
	v_fma_f64 v[4:5], v[8:9], v[52:53], v[40:41]
	buffer_store_dword v52, off, s[52:55], 0 offset:8 ; 4-byte Folded Spill
	s_nop 0
	buffer_store_dword v53, off, s[52:55], 0 offset:12 ; 4-byte Folded Spill
	buffer_store_dword v54, off, s[52:55], 0 offset:16 ; 4-byte Folded Spill
	buffer_store_dword v55, off, s[52:55], 0 offset:20 ; 4-byte Folded Spill
	;; [unrolled: 6-line block ×4, first 2 shown]
	s_waitcnt vmcnt(26)
	v_mul_f64 v[16:17], v[22:23], v[74:75]
	s_waitcnt vmcnt(24)
	v_mul_f64 v[36:37], v[26:27], v[70:71]
	;; [unrolled: 2-line block ×4, first 2 shown]
	v_fma_f64 v[16:17], v[20:21], v[72:73], v[16:17]
	v_fma_f64 v[2:3], v[6:7], v[76:77], -v[38:39]
	v_mul_f64 v[38:39], v[24:25], v[70:71]
	v_fma_f64 v[6:7], v[10:11], v[52:53], -v[42:43]
	v_mul_f64 v[42:43], v[28:29], v[66:67]
	;; [unrolled: 2-line block ×4, first 2 shown]
	buffer_store_dword v72, off, s[52:55], 0 offset:88 ; 4-byte Folded Spill
	s_nop 0
	buffer_store_dword v73, off, s[52:55], 0 offset:92 ; 4-byte Folded Spill
	buffer_store_dword v74, off, s[52:55], 0 offset:96 ; 4-byte Folded Spill
	buffer_store_dword v75, off, s[52:55], 0 offset:100 ; 4-byte Folded Spill
	v_fma_f64 v[20:21], v[24:25], v[68:69], v[36:37]
	buffer_store_dword v68, off, s[52:55], 0 offset:72 ; 4-byte Folded Spill
	s_nop 0
	buffer_store_dword v69, off, s[52:55], 0 offset:76 ; 4-byte Folded Spill
	buffer_store_dword v70, off, s[52:55], 0 offset:80 ; 4-byte Folded Spill
	buffer_store_dword v71, off, s[52:55], 0 offset:84 ; 4-byte Folded Spill
	v_fma_f64 v[24:25], v[28:29], v[64:65], v[40:41]
	;; [unrolled: 6-line block ×3, first 2 shown]
	buffer_store_dword v80, off, s[52:55], 0 offset:120 ; 4-byte Folded Spill
	s_nop 0
	buffer_store_dword v81, off, s[52:55], 0 offset:124 ; 4-byte Folded Spill
	buffer_store_dword v82, off, s[52:55], 0 offset:128 ; 4-byte Folded Spill
	;; [unrolled: 1-line block ×3, first 2 shown]
	v_fma_f64 v[18:19], v[22:23], v[72:73], -v[18:19]
	v_fma_f64 v[22:23], v[26:27], v[68:69], -v[38:39]
	;; [unrolled: 1-line block ×3, first 2 shown]
	v_add_co_u32_e32 v43, vcc, s0, v208
	v_fma_f64 v[30:31], v[34:35], v[80:81], -v[46:47]
	ds_write_b128 v255, v[0:3] offset:5616
	ds_write_b128 v255, v[4:7] offset:11232
	;; [unrolled: 1-line block ×8, first 2 shown]
	s_waitcnt vmcnt(0) lgkmcnt(0)
	s_barrier
	ds_read_b128 v[0:3], v255 offset:5616
	ds_read_b128 v[4:7], v255 offset:11232
	;; [unrolled: 1-line block ×4, first 2 shown]
	ds_read_b128 v[16:19], v255
	ds_read_b128 v[20:23], v255 offset:1872
	s_waitcnt lgkmcnt(4)
	v_add_f64 v[24:25], v[0:1], v[4:5]
	v_add_f64 v[44:45], v[2:3], v[6:7]
	v_add_f64 v[40:41], v[2:3], -v[6:7]
	s_waitcnt lgkmcnt(1)
	v_add_f64 v[36:37], v[16:17], v[0:1]
	v_add_f64 v[2:3], v[18:19], v[2:3]
	s_movk_i32 s0, 0xea
	v_add_co_u32_e32 v42, vcc, s0, v208
	v_fma_f64 v[38:39], v[24:25], -0.5, v[16:17]
	ds_read_b128 v[24:27], v255 offset:7488
	ds_read_b128 v[28:31], v255 offset:9360
	v_fma_f64 v[44:45], v[44:45], -0.5, v[18:19]
	v_add_f64 v[16:17], v[36:37], v[4:5]
	v_add_f64 v[4:5], v[0:1], -v[4:5]
	s_waitcnt lgkmcnt(1)
	v_add_f64 v[46:47], v[24:25], v[8:9]
	v_add_f64 v[50:51], v[26:27], -v[10:11]
	ds_read_b128 v[32:35], v255 offset:14976
	s_mov_b32 s0, 0xe8584caa
	v_add_f64 v[48:49], v[20:21], v[24:25]
	v_add_f64 v[18:19], v[2:3], v[6:7]
	;; [unrolled: 1-line block ×3, first 2 shown]
	s_mov_b32 s1, 0x3febb67a
	v_fma_f64 v[46:47], v[46:47], -0.5, v[20:21]
	s_mov_b32 s6, s0
	v_fma_f64 v[36:37], v[40:41], s[0:1], v[38:39]
	v_fma_f64 v[0:1], v[40:41], s[6:7], v[38:39]
	v_fma_f64 v[38:39], v[4:5], s[6:7], v[44:45]
	v_fma_f64 v[2:3], v[4:5], s[0:1], v[44:45]
	s_waitcnt lgkmcnt(0)
	v_add_f64 v[40:41], v[28:29], v[32:33]
	v_add_f64 v[4:5], v[48:49], v[8:9]
	v_fma_f64 v[20:21], v[50:51], s[0:1], v[46:47]
	v_fma_f64 v[44:45], v[50:51], s[6:7], v[46:47]
	v_add_f64 v[46:47], v[30:31], v[34:35]
	v_add_f64 v[26:27], v[22:23], v[26:27]
	v_fma_f64 v[48:49], v[6:7], -0.5, v[22:23]
	v_add_f64 v[8:9], v[24:25], -v[8:9]
	v_add_f64 v[24:25], v[12:13], v[28:29]
	v_fma_f64 v[40:41], v[40:41], -0.5, v[12:13]
	v_add_f64 v[50:51], v[30:31], -v[34:35]
	v_add_f64 v[30:31], v[14:15], v[30:31]
	v_fma_f64 v[52:53], v[46:47], -0.5, v[14:15]
	v_add_f64 v[28:29], v[28:29], -v[32:33]
	v_add_f64 v[6:7], v[26:27], v[10:11]
	v_fma_f64 v[46:47], v[8:9], s[0:1], v[48:49]
	v_fma_f64 v[22:23], v[8:9], s[6:7], v[48:49]
	v_add_f64 v[8:9], v[24:25], v[32:33]
	v_fma_f64 v[24:25], v[50:51], s[6:7], v[40:41]
	v_add_f64 v[10:11], v[30:31], v[34:35]
	v_fma_f64 v[12:13], v[50:51], s[0:1], v[40:41]
	v_fma_f64 v[26:27], v[28:29], s[0:1], v[52:53]
	;; [unrolled: 1-line block ×3, first 2 shown]
	v_mul_lo_u16_e32 v28, 3, v208
	v_lshlrev_b32_e32 v28, 4, v28
	s_barrier
	ds_write_b128 v28, v[16:19]
	ds_write_b128 v28, v[36:39] offset:16
	ds_write_b128 v28, v[0:3] offset:32
	v_mul_u32_u24_e32 v0, 3, v43
	v_lshlrev_b32_e32 v0, 4, v0
	buffer_store_dword v28, off, s[52:55], 0 offset:164 ; 4-byte Folded Spill
	ds_write_b128 v0, v[4:7]
	ds_write_b128 v0, v[20:23] offset:16
	buffer_store_dword v0, off, s[52:55], 0 offset:168 ; 4-byte Folded Spill
	ds_write_b128 v0, v[44:47] offset:32
	v_mul_u32_u24_e32 v0, 3, v42
	v_lshlrev_b32_e32 v0, 4, v0
	ds_write_b128 v0, v[8:11]
	ds_write_b128 v0, v[12:15] offset:16
	buffer_store_dword v0, off, s[52:55], 0 offset:172 ; 4-byte Folded Spill
	ds_write_b128 v0, v[24:27] offset:32
	v_mul_lo_u16_sdwa v0, v208, s2 dst_sel:DWORD dst_unused:UNUSED_PAD src0_sel:BYTE_0 src1_sel:DWORD
	v_lshrrev_b16_e32 v50, 9, v0
	v_mul_lo_u16_e32 v0, 3, v50
	v_sub_u16_e32 v0, v208, v0
	v_and_b32_e32 v51, 0xff, v0
	v_lshlrev_b32_e32 v0, 5, v51
	s_waitcnt vmcnt(0) lgkmcnt(0)
	s_barrier
	global_load_dwordx4 v[84:87], v0, s[14:15] offset:16
	global_load_dwordx4 v[96:99], v0, s[14:15]
	v_mul_lo_u16_sdwa v0, v43, s2 dst_sel:DWORD dst_unused:UNUSED_PAD src0_sel:BYTE_0 src1_sel:DWORD
	v_lshrrev_b16_e32 v52, 9, v0
	v_mul_lo_u16_e32 v0, 3, v52
	v_sub_u16_e32 v0, v43, v0
	v_and_b32_e32 v53, 0xff, v0
	v_lshlrev_b32_e32 v0, 5, v53
	s_mov_b32 s2, 0xaaab
	global_load_dwordx4 v[88:91], v0, s[14:15] offset:16
	global_load_dwordx4 v[92:95], v0, s[14:15]
	v_mul_u32_u24_sdwa v0, v42, s2 dst_sel:DWORD dst_unused:UNUSED_PAD src0_sel:WORD_0 src1_sel:DWORD
	v_lshrrev_b32_e32 v54, 17, v0
	v_mul_lo_u16_e32 v0, 3, v54
	v_sub_u16_e32 v55, v42, v0
	v_lshlrev_b16_e32 v0, 1, v55
	v_lshlrev_b32_e32 v0, 4, v0
	global_load_dwordx4 v[104:107], v0, s[14:15]
	global_load_dwordx4 v[100:103], v0, s[14:15] offset:16
	ds_read_b128 v[0:3], v255 offset:5616
	ds_read_b128 v[4:7], v255 offset:11232
	;; [unrolled: 1-line block ×4, first 2 shown]
	ds_read_b128 v[16:19], v255
	ds_read_b128 v[20:23], v255 offset:1872
	ds_read_b128 v[24:27], v255 offset:7488
	;; [unrolled: 1-line block ×3, first 2 shown]
	s_load_dwordx2 s[2:3], s[4:5], 0x38
	s_waitcnt vmcnt(5) lgkmcnt(0)
	v_mul_f64 v[36:37], v[6:7], v[86:87]
	s_waitcnt vmcnt(4)
	v_mul_f64 v[32:33], v[2:3], v[98:99]
	v_mul_f64 v[34:35], v[0:1], v[98:99]
	;; [unrolled: 1-line block ×3, first 2 shown]
	v_fma_f64 v[4:5], v[4:5], v[84:85], -v[36:37]
	v_fma_f64 v[32:33], v[0:1], v[96:97], -v[32:33]
	v_fma_f64 v[34:35], v[2:3], v[96:97], v[34:35]
	s_waitcnt vmcnt(2)
	v_mul_f64 v[36:37], v[26:27], v[94:95]
	v_mul_f64 v[40:41], v[24:25], v[94:95]
	;; [unrolled: 1-line block ×3, first 2 shown]
	v_fma_f64 v[6:7], v[6:7], v[84:85], v[38:39]
	v_mul_f64 v[38:39], v[8:9], v[90:91]
	s_waitcnt vmcnt(1)
	v_mul_f64 v[46:47], v[30:31], v[106:107]
	ds_read_b128 v[0:3], v255 offset:14976
	v_mul_f64 v[48:49], v[28:29], v[106:107]
	v_fma_f64 v[24:25], v[24:25], v[92:93], -v[36:37]
	v_fma_f64 v[26:27], v[26:27], v[92:93], v[40:41]
	v_fma_f64 v[8:9], v[8:9], v[88:89], -v[44:45]
	v_add_f64 v[36:37], v[32:33], v[4:5]
	v_fma_f64 v[10:11], v[10:11], v[88:89], v[38:39]
	v_fma_f64 v[28:29], v[28:29], v[104:105], -v[46:47]
	v_add_f64 v[38:39], v[34:35], v[6:7]
	s_waitcnt vmcnt(0) lgkmcnt(0)
	v_mul_f64 v[40:41], v[2:3], v[102:103]
	v_mul_f64 v[44:45], v[0:1], v[102:103]
	v_add_f64 v[46:47], v[16:17], v[32:33]
	v_fma_f64 v[30:31], v[30:31], v[104:105], v[48:49]
	v_fma_f64 v[16:17], v[36:37], -0.5, v[16:17]
	v_add_f64 v[36:37], v[34:35], -v[6:7]
	v_add_f64 v[34:35], v[18:19], v[34:35]
	v_fma_f64 v[18:19], v[38:39], -0.5, v[18:19]
	v_add_f64 v[32:33], v[32:33], -v[4:5]
	v_fma_f64 v[0:1], v[0:1], v[100:101], -v[40:41]
	v_fma_f64 v[2:3], v[2:3], v[100:101], v[44:45]
	v_add_f64 v[108:109], v[46:47], v[4:5]
	v_add_f64 v[4:5], v[24:25], v[8:9]
	v_fma_f64 v[112:113], v[36:37], s[0:1], v[16:17]
	v_fma_f64 v[116:117], v[36:37], s[6:7], v[16:17]
	v_add_f64 v[110:111], v[34:35], v[6:7]
	v_fma_f64 v[114:115], v[32:33], s[6:7], v[18:19]
	v_add_f64 v[6:7], v[26:27], v[10:11]
	v_add_f64 v[16:17], v[20:21], v[24:25]
	v_fma_f64 v[118:119], v[32:33], s[0:1], v[18:19]
	v_fma_f64 v[4:5], v[4:5], -0.5, v[20:21]
	v_add_f64 v[18:19], v[28:29], v[0:1]
	v_add_f64 v[20:21], v[26:27], -v[10:11]
	v_add_f64 v[32:33], v[30:31], v[2:3]
	v_add_f64 v[26:27], v[22:23], v[26:27]
	v_fma_f64 v[6:7], v[6:7], -0.5, v[22:23]
	v_add_f64 v[120:121], v[16:17], v[8:9]
	v_add_f64 v[8:9], v[24:25], -v[8:9]
	v_add_f64 v[16:17], v[12:13], v[28:29]
	v_fma_f64 v[12:13], v[18:19], -0.5, v[12:13]
	v_add_f64 v[18:19], v[30:31], -v[2:3]
	v_add_f64 v[22:23], v[14:15], v[30:31]
	v_fma_f64 v[14:15], v[32:33], -0.5, v[14:15]
	v_fma_f64 v[124:125], v[20:21], s[0:1], v[4:5]
	v_fma_f64 v[128:129], v[20:21], s[6:7], v[4:5]
	v_add_f64 v[4:5], v[28:29], -v[0:1]
	v_add_f64 v[122:123], v[26:27], v[10:11]
	v_fma_f64 v[126:127], v[8:9], s[6:7], v[6:7]
	v_fma_f64 v[130:131], v[8:9], s[0:1], v[6:7]
	v_add_f64 v[132:133], v[16:17], v[0:1]
	v_fma_f64 v[136:137], v[18:19], s[0:1], v[12:13]
	v_fma_f64 v[140:141], v[18:19], s[6:7], v[12:13]
	;; [unrolled: 3-line block ×3, first 2 shown]
	v_mul_u32_u24_e32 v0, 9, v50
	v_add_lshl_u32 v70, v0, v51, 4
	v_mul_u32_u24_e32 v0, 9, v52
	v_add_lshl_u32 v71, v0, v53, 4
	v_mad_legacy_u16 v0, v54, 9, v55
	s_movk_i32 s0, 0x51
	v_lshlrev_b32_e32 v0, 4, v0
	v_cmp_gt_u16_e32 vcc, s0, v208
	s_barrier
	ds_write_b128 v70, v[108:111]
	ds_write_b128 v70, v[112:115] offset:48
	ds_write_b128 v70, v[116:119] offset:96
	ds_write_b128 v71, v[120:123]
	ds_write_b128 v71, v[124:127] offset:48
	ds_write_b128 v71, v[128:131] offset:96
	ds_write_b128 v0, v[132:135]
	ds_write_b128 v0, v[136:139] offset:48
	buffer_store_dword v0, off, s[52:55], 0 offset:160 ; 4-byte Folded Spill
	ds_write_b128 v0, v[140:143] offset:96
	s_waitcnt vmcnt(0) lgkmcnt(0)
	s_barrier
	s_and_saveexec_b64 s[0:1], vcc
	s_cbranch_execz .LBB0_3
; %bb.2:
	ds_read_b128 v[108:111], v255
	ds_read_b128 v[112:115], v255 offset:1296
	ds_read_b128 v[116:119], v255 offset:2592
	ds_read_b128 v[120:123], v255 offset:3888
	ds_read_b128 v[124:127], v255 offset:5184
	ds_read_b128 v[128:131], v255 offset:6480
	ds_read_b128 v[132:135], v255 offset:7776
	ds_read_b128 v[136:139], v255 offset:9072
	ds_read_b128 v[140:143], v255 offset:10368
	ds_read_b128 v[144:147], v255 offset:11664
	ds_read_b128 v[148:151], v255 offset:12960
	ds_read_b128 v[152:155], v255 offset:14256
	ds_read_b128 v[156:159], v255 offset:15552
.LBB0_3:
	s_or_b64 exec, exec, s[0:1]
	v_mov_b32_e32 v0, 57
	v_mul_lo_u16_sdwa v0, v208, v0 dst_sel:DWORD dst_unused:UNUSED_PAD src0_sel:BYTE_0 src1_sel:DWORD
	v_lshrrev_b16_e32 v0, 9, v0
	buffer_store_dword v0, off, s[52:55], 0 offset:152 ; 4-byte Folded Spill
	v_mul_lo_u16_e32 v0, 9, v0
	v_sub_u16_e32 v0, v208, v0
	v_and_b32_e32 v2, 0xff, v0
	v_mov_b32_e32 v0, s14
	s_movk_i32 s0, 0xc0
	v_mov_b32_e32 v1, s15
	v_mad_u64_u32 v[0:1], s[0:1], v2, s0, v[0:1]
	buffer_store_dword v2, off, s[52:55], 0 offset:156 ; 4-byte Folded Spill
	global_load_dwordx4 v[48:51], v[0:1], off offset:96
	global_load_dwordx4 v[204:207], v[0:1], off offset:112
	;; [unrolled: 1-line block ×12, first 2 shown]
	s_mov_b32 s4, 0x42a4c3d2
	s_mov_b32 s5, 0xbfea55e2
	;; [unrolled: 1-line block ×36, first 2 shown]
	s_waitcnt vmcnt(11) lgkmcnt(11)
	v_mul_f64 v[0:1], v[114:115], v[50:51]
	v_mul_f64 v[2:3], v[112:113], v[50:51]
	s_waitcnt vmcnt(9) lgkmcnt(9)
	v_mul_f64 v[8:9], v[122:123], v[54:55]
	s_waitcnt vmcnt(8) lgkmcnt(8)
	;; [unrolled: 2-line block ×3, first 2 shown]
	v_mul_f64 v[16:17], v[130:131], v[162:163]
	v_mul_f64 v[10:11], v[120:121], v[54:55]
	v_mul_f64 v[14:15], v[124:125], v[64:65]
	s_waitcnt vmcnt(4) lgkmcnt(0)
	v_mul_f64 v[28:29], v[156:157], v[58:59]
	v_mul_f64 v[18:19], v[128:129], v[162:163]
	s_waitcnt vmcnt(2)
	v_mul_f64 v[32:33], v[152:153], v[68:69]
	v_mul_f64 v[34:35], v[158:159], v[58:59]
	;; [unrolled: 1-line block ×3, first 2 shown]
	v_fma_f64 v[180:181], v[112:113], v[48:49], -v[0:1]
	buffer_store_dword v48, off, s[52:55], 0 offset:176 ; 4-byte Folded Spill
	s_nop 0
	buffer_store_dword v49, off, s[52:55], 0 offset:180 ; 4-byte Folded Spill
	buffer_store_dword v50, off, s[52:55], 0 offset:184 ; 4-byte Folded Spill
	;; [unrolled: 1-line block ×3, first 2 shown]
	v_fma_f64 v[172:173], v[120:121], v[52:53], -v[8:9]
	buffer_store_dword v52, off, s[52:55], 0 offset:192 ; 4-byte Folded Spill
	s_nop 0
	buffer_store_dword v53, off, s[52:55], 0 offset:196 ; 4-byte Folded Spill
	buffer_store_dword v54, off, s[52:55], 0 offset:200 ; 4-byte Folded Spill
	;; [unrolled: 1-line block ×3, first 2 shown]
	v_fma_f64 v[168:169], v[124:125], v[62:63], -v[12:13]
	v_fma_f64 v[164:165], v[128:129], v[160:161], -v[16:17]
	buffer_store_dword v160, off, s[52:55], 0 offset:272 ; 4-byte Folded Spill
	s_nop 0
	buffer_store_dword v161, off, s[52:55], 0 offset:276 ; 4-byte Folded Spill
	buffer_store_dword v162, off, s[52:55], 0 offset:280 ; 4-byte Folded Spill
	;; [unrolled: 1-line block ×3, first 2 shown]
	v_fma_f64 v[120:121], v[158:159], v[56:57], v[28:29]
	buffer_store_dword v56, off, s[52:55], 0 offset:208 ; 4-byte Folded Spill
	s_nop 0
	buffer_store_dword v57, off, s[52:55], 0 offset:212 ; 4-byte Folded Spill
	buffer_store_dword v58, off, s[52:55], 0 offset:216 ; 4-byte Folded Spill
	;; [unrolled: 1-line block ×3, first 2 shown]
	v_fma_f64 v[124:125], v[154:155], v[66:67], v[32:33]
	buffer_store_dword v66, off, s[52:55], 0 offset:224 ; 4-byte Folded Spill
	s_nop 0
	buffer_store_dword v67, off, s[52:55], 0 offset:228 ; 4-byte Folded Spill
	buffer_store_dword v68, off, s[52:55], 0 offset:232 ; 4-byte Folded Spill
	;; [unrolled: 1-line block ×3, first 2 shown]
	s_waitcnt vmcnt(21)
	v_mul_f64 v[38:39], v[146:147], v[192:193]
	v_mul_f64 v[44:45], v[144:145], v[192:193]
	;; [unrolled: 1-line block ×4, first 2 shown]
	s_waitcnt vmcnt(20)
	v_mul_f64 v[46:47], v[150:151], v[188:189]
	v_fma_f64 v[170:171], v[126:127], v[62:63], v[14:15]
	v_mul_f64 v[26:27], v[136:137], v[74:75]
	v_mul_f64 v[36:37], v[140:141], v[82:83]
	v_fma_f64 v[144:145], v[144:145], v[190:191], -v[38:39]
	buffer_store_dword v190, off, s[52:55], 0 offset:256 ; 4-byte Folded Spill
	s_nop 0
	buffer_store_dword v191, off, s[52:55], 0 offset:260 ; 4-byte Folded Spill
	buffer_store_dword v192, off, s[52:55], 0 offset:264 ; 4-byte Folded Spill
	;; [unrolled: 1-line block ×3, first 2 shown]
	v_fma_f64 v[176:177], v[116:117], v[204:205], -v[4:5]
	v_mul_f64 v[184:185], v[148:149], v[188:189]
	v_mul_f64 v[6:7], v[116:117], v[206:207]
	;; [unrolled: 1-line block ×3, first 2 shown]
	v_fma_f64 v[158:159], v[138:139], v[72:73], v[26:27]
	v_fma_f64 v[154:155], v[142:143], v[80:81], v[36:37]
	v_mul_f64 v[22:23], v[132:133], v[78:79]
	v_mul_f64 v[20:21], v[134:135], v[78:79]
	v_add_f64 v[239:240], v[168:169], v[144:145]
	v_fma_f64 v[178:179], v[118:119], v[204:205], v[6:7]
	v_fma_f64 v[162:163], v[134:135], v[76:77], v[22:23]
	v_add_f64 v[112:113], v[178:179], -v[124:125]
	v_add_f64 v[12:13], v[178:179], v[124:125]
	v_add_f64 v[247:248], v[162:163], v[158:159]
	v_mul_f64 v[58:59], v[112:113], s[4:5]
	v_mul_f64 v[225:226], v[112:113], s[36:37]
	v_fma_f64 v[182:183], v[114:115], v[48:49], v[2:3]
	v_fma_f64 v[174:175], v[122:123], v[52:53], v[10:11]
	;; [unrolled: 1-line block ×3, first 2 shown]
	v_fma_f64 v[160:161], v[132:133], v[76:77], -v[20:21]
	v_fma_f64 v[122:123], v[156:157], v[56:57], -v[34:35]
	;; [unrolled: 1-line block ×6, first 2 shown]
	buffer_store_dword v186, off, s[52:55], 0 offset:240 ; 4-byte Folded Spill
	s_nop 0
	buffer_store_dword v187, off, s[52:55], 0 offset:244 ; 4-byte Folded Spill
	buffer_store_dword v188, off, s[52:55], 0 offset:248 ; 4-byte Folded Spill
	;; [unrolled: 1-line block ×3, first 2 shown]
	v_add_f64 v[114:115], v[182:183], -v[120:121]
	v_add_f64 v[24:25], v[168:169], -v[144:145]
	v_mul_f64 v[46:47], v[112:113], s[28:29]
	v_add_f64 v[30:31], v[180:181], -v[122:123]
	v_add_f64 v[28:29], v[176:177], -v[126:127]
	;; [unrolled: 1-line block ×4, first 2 shown]
	v_fma_f64 v[146:147], v[146:147], v[190:191], v[44:45]
	v_mul_f64 v[44:45], v[114:115], s[4:5]
	v_mul_f64 v[40:41], v[24:25], s[28:29]
	v_add_f64 v[14:15], v[180:181], v[122:123]
	v_add_f64 v[22:23], v[182:183], v[120:121]
	v_mul_f64 v[16:17], v[28:29], s[4:5]
	buffer_store_dword v16, off, s[52:55], 0 offset:296 ; 4-byte Folded Spill
	s_nop 0
	buffer_store_dword v17, off, s[52:55], 0 offset:300 ; 4-byte Folded Spill
	v_mul_f64 v[36:37], v[26:27], s[30:31]
	buffer_store_dword v36, off, s[52:55], 0 offset:312 ; 4-byte Folded Spill
	s_nop 0
	buffer_store_dword v37, off, s[52:55], 0 offset:316 ; 4-byte Folded Spill
	;; [unrolled: 4-line block ×3, first 2 shown]
	buffer_store_dword v38, off, s[52:55], 0 offset:288 ; 4-byte Folded Spill
	s_nop 0
	buffer_store_dword v39, off, s[52:55], 0 offset:292 ; 4-byte Folded Spill
	buffer_store_dword v44, off, s[52:55], 0 offset:320 ; 4-byte Folded Spill
	s_nop 0
	buffer_store_dword v45, off, s[52:55], 0 offset:324 ; 4-byte Folded Spill
	;; [unrolled: 3-line block ×3, first 2 shown]
	v_mul_f64 v[48:49], v[114:115], s[6:7]
	v_mul_f64 v[50:51], v[30:31], s[6:7]
	v_add_f64 v[10:11], v[176:177], v[126:127]
	v_add_f64 v[4:5], v[172:173], v[140:141]
	v_add_f64 v[148:149], v[170:171], -v[146:147]
	v_add_f64 v[243:244], v[170:171], v[146:147]
	v_add_f64 v[34:35], v[166:167], -v[154:155]
	v_add_f64 v[229:230], v[166:167], v[154:155]
	v_fma_f64 v[0:1], v[14:15], s[0:1], v[48:49]
	v_fma_f64 v[2:3], v[22:23], s[0:1], -v[50:51]
	v_fma_f64 v[6:7], v[10:11], s[16:17], v[58:59]
	v_add_f64 v[227:228], v[164:165], v[152:153]
	v_mul_f64 v[60:61], v[148:149], s[28:29]
	v_add_f64 v[32:33], v[160:161], -v[156:157]
	v_mul_f64 v[54:55], v[34:35], s[34:35]
	v_mul_f64 v[235:236], v[30:31], s[4:5]
	v_add_f64 v[0:1], v[108:109], v[0:1]
	v_add_f64 v[2:3], v[110:111], v[2:3]
	;; [unrolled: 1-line block ×3, first 2 shown]
	v_mul_f64 v[211:212], v[28:29], s[28:29]
	v_mul_f64 v[215:216], v[26:27], s[36:37]
	;; [unrolled: 1-line block ×5, first 2 shown]
	v_add_f64 v[0:1], v[6:7], v[0:1]
	v_fma_f64 v[6:7], v[239:240], s[20:21], v[60:61]
	v_mul_f64 v[221:222], v[24:25], s[38:39]
	v_mul_f64 v[251:252], v[26:27], s[44:45]
	;; [unrolled: 1-line block ×9, first 2 shown]
	v_fma_f64 v[142:143], v[150:151], v[186:187], v[184:185]
	v_add_f64 v[150:151], v[162:163], -v[158:159]
	v_mul_f64 v[192:193], v[148:149], s[30:31]
	v_fma_f64 v[130:131], v[229:230], s[18:19], -v[241:242]
	v_mul_f64 v[202:203], v[24:25], s[30:31]
	v_fma_f64 v[134:135], v[247:248], s[0:1], -v[249:250]
	v_fma_f64 v[138:139], v[14:15], s[20:21], v[194:195]
	v_mul_f64 v[188:189], v[34:35], s[46:47]
	v_add_f64 v[184:185], v[174:175], -v[142:143]
	v_add_f64 v[8:9], v[174:175], v[142:143]
	v_mul_f64 v[52:53], v[150:151], s[36:37]
	v_mul_f64 v[219:220], v[150:151], s[40:41]
	;; [unrolled: 1-line block ×9, first 2 shown]
	v_fma_f64 v[128:129], v[8:9], s[20:21], -v[251:252]
	v_mul_f64 v[196:197], v[184:185], s[40:41]
	s_waitcnt vmcnt(0)
	s_barrier
	v_fma_f64 v[16:17], v[12:13], s[16:17], -v[16:17]
	v_fma_f64 v[20:21], v[4:5], s[18:19], v[132:133]
	v_add_f64 v[2:3], v[16:17], v[2:3]
	v_fma_f64 v[36:37], v[8:9], s[18:19], -v[36:37]
	v_add_f64 v[0:1], v[20:21], v[0:1]
	v_fma_f64 v[16:17], v[243:244], s[20:21], -v[40:41]
	v_fma_f64 v[20:21], v[227:228], s[22:23], v[54:55]
	v_fma_f64 v[40:41], v[247:248], s[24:25], -v[56:57]
	v_add_f64 v[2:3], v[36:37], v[2:3]
	v_fma_f64 v[36:37], v[229:230], s[22:23], -v[38:39]
	v_fma_f64 v[38:39], v[14:15], s[16:17], v[44:45]
	v_add_f64 v[0:1], v[6:7], v[0:1]
	v_fma_f64 v[6:7], v[22:23], s[16:17], -v[235:236]
	v_fma_f64 v[44:45], v[10:11], s[20:21], v[46:47]
	v_fma_f64 v[46:47], v[4:5], s[24:25], v[209:210]
	v_add_f64 v[2:3], v[16:17], v[2:3]
	v_fma_f64 v[16:17], v[233:234], s[24:25], v[52:53]
	v_add_f64 v[38:39], v[108:109], v[38:39]
	v_add_f64 v[0:1], v[20:21], v[0:1]
	;; [unrolled: 1-line block ×3, first 2 shown]
	v_mul_f64 v[20:21], v[30:31], s[30:31]
	v_add_f64 v[2:3], v[36:37], v[2:3]
	v_fma_f64 v[36:37], v[12:13], s[20:21], -v[211:212]
	v_add_f64 v[38:39], v[44:45], v[38:39]
	v_add_f64 v[116:117], v[16:17], v[0:1]
	v_mul_f64 v[16:17], v[28:29], s[36:37]
	v_fma_f64 v[44:45], v[243:244], s[22:23], -v[221:222]
	v_add_f64 v[118:119], v[40:41], v[2:3]
	v_add_f64 v[0:1], v[36:37], v[6:7]
	v_fma_f64 v[2:3], v[8:9], s[24:25], -v[215:216]
	v_add_f64 v[6:7], v[46:47], v[38:39]
	v_fma_f64 v[36:37], v[14:15], s[18:19], v[223:224]
	v_fma_f64 v[38:39], v[22:23], s[18:19], -v[20:21]
	v_fma_f64 v[46:47], v[12:13], s[24:25], -v[16:17]
	v_fma_f64 v[40:41], v[239:240], s[22:23], v[213:214]
	v_add_f64 v[2:3], v[2:3], v[0:1]
	v_add_f64 v[0:1], v[108:109], v[36:37]
	v_fma_f64 v[36:37], v[10:11], s[24:25], v[225:226]
	v_add_f64 v[38:39], v[110:111], v[38:39]
	v_add_f64 v[6:7], v[40:41], v[6:7]
	;; [unrolled: 1-line block ×3, first 2 shown]
	v_fma_f64 v[44:45], v[227:228], s[18:19], v[217:218]
	v_mul_f64 v[2:3], v[18:19], s[4:5]
	v_add_f64 v[36:37], v[36:37], v[0:1]
	v_add_f64 v[38:39], v[46:47], v[38:39]
	v_fma_f64 v[46:47], v[4:5], s[20:21], v[231:232]
	v_mul_f64 v[0:1], v[24:25], s[40:41]
	v_add_f64 v[40:41], v[130:131], v[40:41]
	v_add_f64 v[44:45], v[44:45], v[6:7]
	v_mul_f64 v[6:7], v[32:33], s[34:35]
	v_fma_f64 v[130:131], v[233:234], s[0:1], v[219:220]
	v_add_f64 v[38:39], v[128:129], v[38:39]
	v_add_f64 v[36:37], v[46:47], v[36:37]
	v_fma_f64 v[46:47], v[239:240], s[0:1], v[237:238]
	v_fma_f64 v[128:129], v[243:244], s[0:1], -v[0:1]
	v_add_f64 v[68:69], v[134:135], v[40:41]
	v_mul_f64 v[40:41], v[28:29], s[38:39]
	v_fma_f64 v[136:137], v[247:248], s[22:23], -v[6:7]
	v_add_f64 v[66:67], v[130:131], v[44:45]
	v_fma_f64 v[44:45], v[10:11], s[22:23], v[190:191]
	v_add_f64 v[36:37], v[46:47], v[36:37]
	v_add_f64 v[38:39], v[128:129], v[38:39]
	v_fma_f64 v[46:47], v[227:228], s[16:17], v[245:246]
	v_fma_f64 v[128:129], v[229:230], s[16:17], -v[2:3]
	v_add_f64 v[36:37], v[46:47], v[36:37]
	v_add_f64 v[46:47], v[128:129], v[38:39]
	v_fma_f64 v[128:129], v[233:234], s[22:23], v[253:254]
	v_mul_f64 v[38:39], v[30:31], s[28:29]
	v_add_f64 v[130:131], v[136:137], v[46:47]
	v_add_f64 v[128:129], v[128:129], v[36:37]
	;; [unrolled: 1-line block ×3, first 2 shown]
	v_fma_f64 v[46:47], v[22:23], s[20:21], -v[38:39]
	v_add_f64 v[36:37], v[44:45], v[36:37]
	v_add_f64 v[44:45], v[110:111], v[46:47]
	v_fma_f64 v[46:47], v[12:13], s[22:23], -v[40:41]
	v_add_f64 v[44:45], v[46:47], v[44:45]
	v_fma_f64 v[46:47], v[4:5], s[0:1], v[196:197]
	v_add_f64 v[46:47], v[46:47], v[36:37]
	v_mul_f64 v[36:37], v[26:27], s[40:41]
	v_fma_f64 v[136:137], v[8:9], s[0:1], -v[36:37]
	v_add_f64 v[44:45], v[136:137], v[44:45]
	v_fma_f64 v[136:137], v[239:240], s[18:19], v[192:193]
	v_add_f64 v[46:47], v[136:137], v[46:47]
	v_fma_f64 v[136:137], v[243:244], s[18:19], -v[202:203]
	v_add_f64 v[44:45], v[136:137], v[44:45]
	v_fma_f64 v[136:137], v[227:228], s[24:25], v[188:189]
	v_add_f64 v[46:47], v[136:137], v[46:47]
	;; [unrolled: 4-line block ×3, first 2 shown]
	v_fma_f64 v[46:47], v[247:248], s[16:17], -v[198:199]
	v_add_f64 v[138:139], v[46:47], v[44:45]
	s_and_saveexec_b64 s[26:27], vcc
	s_cbranch_execz .LBB0_5
; %bb.4:
	v_mul_f64 v[44:45], v[22:23], s[24:25]
	buffer_store_dword v48, off, s[52:55], 0 offset:416 ; 4-byte Folded Spill
	s_nop 0
	buffer_store_dword v49, off, s[52:55], 0 offset:420 ; 4-byte Folded Spill
	buffer_store_dword v50, off, s[52:55], 0 offset:432 ; 4-byte Folded Spill
	s_nop 0
	buffer_store_dword v51, off, s[52:55], 0 offset:436 ; 4-byte Folded Spill
	v_mul_f64 v[46:47], v[114:115], s[36:37]
	v_mul_f64 v[48:49], v[12:13], s[0:1]
	buffer_store_dword v116, off, s[52:55], 0 offset:344 ; 4-byte Folded Spill
	s_nop 0
	buffer_store_dword v117, off, s[52:55], 0 offset:348 ; 4-byte Folded Spill
	buffer_store_dword v118, off, s[52:55], 0 offset:352 ; 4-byte Folded Spill
	;; [unrolled: 1-line block ×4, first 2 shown]
	s_nop 0
	buffer_store_dword v53, off, s[52:55], 0 offset:396 ; 4-byte Folded Spill
	buffer_store_dword v54, off, s[52:55], 0 offset:408 ; 4-byte Folded Spill
	s_nop 0
	buffer_store_dword v55, off, s[52:55], 0 offset:412 ; 4-byte Folded Spill
	v_fma_f64 v[50:51], v[30:31], s[46:47], v[44:45]
	buffer_store_dword v56, off, s[52:55], 0 offset:400 ; 4-byte Folded Spill
	s_nop 0
	buffer_store_dword v57, off, s[52:55], 0 offset:404 ; 4-byte Folded Spill
	v_mul_f64 v[116:117], v[112:113], s[40:41]
	v_fma_f64 v[118:119], v[14:15], s[24:25], v[46:47]
	v_mul_f64 v[52:53], v[8:9], s[22:23]
	v_fma_f64 v[56:57], v[28:29], s[6:7], v[48:49]
	buffer_store_dword v58, off, s[52:55], 0 offset:440 ; 4-byte Folded Spill
	s_nop 0
	buffer_store_dword v59, off, s[52:55], 0 offset:444 ; 4-byte Folded Spill
	buffer_store_dword v70, off, s[52:55], 0 offset:336 ; 4-byte Folded Spill
	;; [unrolled: 1-line block ×4, first 2 shown]
	s_nop 0
	buffer_store_dword v67, off, s[52:55], 0 offset:380 ; 4-byte Folded Spill
	buffer_store_dword v68, off, s[52:55], 0 offset:384 ; 4-byte Folded Spill
	;; [unrolled: 1-line block ×3, first 2 shown]
	v_add_f64 v[50:51], v[110:111], v[50:51]
	buffer_store_dword v60, off, s[52:55], 0 offset:424 ; 4-byte Folded Spill
	s_nop 0
	buffer_store_dword v61, off, s[52:55], 0 offset:428 ; 4-byte Folded Spill
	buffer_store_dword v132, off, s[52:55], 0 offset:448 ; 4-byte Folded Spill
	s_nop 0
	buffer_store_dword v133, off, s[52:55], 0 offset:452 ; 4-byte Folded Spill
	v_mov_b32_e32 v135, v65
	v_mul_f64 v[54:55], v[184:185], s[34:35]
	v_fma_f64 v[58:59], v[10:11], s[0:1], v[116:117]
	v_add_f64 v[118:119], v[108:109], v[118:119]
	v_mov_b32_e32 v134, v64
	v_mov_b32_e32 v133, v63
	;; [unrolled: 1-line block ×3, first 2 shown]
	v_mul_f64 v[62:63], v[243:244], s[16:17]
	v_fma_f64 v[64:65], v[26:27], s[38:39], v[52:53]
	v_fma_f64 v[44:45], v[30:31], s[36:37], v[44:45]
	v_add_f64 v[50:51], v[56:57], v[50:51]
	v_mul_f64 v[60:61], v[229:230], s[20:21]
	v_fma_f64 v[56:57], v[4:5], s[22:23], v[54:55]
	v_add_f64 v[58:59], v[58:59], v[118:119]
	v_mul_f64 v[66:67], v[148:149], s[48:49]
	v_fma_f64 v[48:49], v[28:29], s[40:41], v[48:49]
	v_mov_b32_e32 v68, v204
	v_add_f64 v[44:45], v[110:111], v[44:45]
	v_add_f64 v[50:51], v[64:65], v[50:51]
	v_fma_f64 v[64:65], v[24:25], s[4:5], v[62:63]
	v_mov_b32_e32 v69, v205
	v_mov_b32_e32 v70, v206
	;; [unrolled: 1-line block ×3, first 2 shown]
	v_mul_f64 v[204:205], v[247:248], s[18:19]
	v_mul_f64 v[118:119], v[34:35], s[28:29]
	v_fma_f64 v[46:47], v[14:15], s[24:25], -v[46:47]
	v_add_f64 v[56:57], v[56:57], v[58:59]
	v_fma_f64 v[58:59], v[239:240], s[16:17], v[66:67]
	v_fma_f64 v[52:53], v[26:27], s[34:35], v[52:53]
	v_add_f64 v[44:45], v[48:49], v[44:45]
	v_add_f64 v[50:51], v[64:65], v[50:51]
	v_fma_f64 v[64:65], v[18:19], s[44:45], v[60:61]
	v_fma_f64 v[116:117], v[10:11], s[0:1], -v[116:117]
	v_add_f64 v[46:47], v[108:109], v[46:47]
	v_mul_f64 v[48:49], v[150:151], s[42:43]
	v_add_f64 v[56:57], v[58:59], v[56:57]
	v_fma_f64 v[58:59], v[227:228], s[20:21], v[118:119]
	v_add_f64 v[44:45], v[52:53], v[44:45]
	v_mul_f64 v[52:53], v[22:23], s[22:23]
	v_fma_f64 v[62:63], v[24:25], s[48:49], v[62:63]
	v_add_f64 v[50:51], v[64:65], v[50:51]
	v_fma_f64 v[64:65], v[32:33], s[30:31], v[204:205]
	v_mul_f64 v[206:207], v[114:115], s[34:35]
	buffer_store_dword v128, off, s[52:55], 0 offset:360 ; 4-byte Folded Spill
	s_nop 0
	buffer_store_dword v129, off, s[52:55], 0 offset:364 ; 4-byte Folded Spill
	buffer_store_dword v130, off, s[52:55], 0 offset:368 ; 4-byte Folded Spill
	;; [unrolled: 1-line block ×3, first 2 shown]
	v_add_f64 v[46:47], v[116:117], v[46:47]
	v_mul_f64 v[116:117], v[12:13], s[18:19]
	v_add_f64 v[56:57], v[58:59], v[56:57]
	v_fma_f64 v[58:59], v[233:234], s[18:19], v[48:49]
	v_mul_f64 v[128:129], v[112:113], s[42:43]
	v_fma_f64 v[54:55], v[4:5], s[22:23], -v[54:55]
	v_fma_f64 v[60:61], v[18:19], s[28:29], v[60:61]
	v_add_f64 v[44:45], v[62:63], v[44:45]
	v_fma_f64 v[62:63], v[30:31], s[38:39], v[52:53]
	v_add_f64 v[114:115], v[64:65], v[50:51]
	v_fma_f64 v[50:51], v[14:15], s[22:23], v[206:207]
	v_add_f64 v[112:113], v[58:59], v[56:57]
	v_fma_f64 v[56:57], v[239:240], s[16:17], -v[66:67]
	v_add_f64 v[46:47], v[54:55], v[46:47]
	v_mul_f64 v[54:55], v[8:9], s[16:17]
	v_fma_f64 v[58:59], v[28:29], s[30:31], v[116:117]
	v_add_f64 v[62:63], v[110:111], v[62:63]
	v_add_f64 v[44:45], v[60:61], v[44:45]
	v_fma_f64 v[60:61], v[10:11], s[18:19], v[128:129]
	v_add_f64 v[50:51], v[108:109], v[50:51]
	v_mul_f64 v[64:65], v[184:185], s[4:5]
	v_add_f64 v[46:47], v[56:57], v[46:47]
	v_fma_f64 v[56:57], v[26:27], s[48:49], v[54:55]
	v_fma_f64 v[66:67], v[227:228], s[20:21], -v[118:119]
	v_add_f64 v[58:59], v[58:59], v[62:63]
	v_mul_f64 v[62:63], v[243:244], s[24:25]
	v_mul_f64 v[118:119], v[148:149], s[46:47]
	v_add_f64 v[50:51], v[60:61], v[50:51]
	v_fma_f64 v[60:61], v[4:5], s[16:17], v[64:65]
	v_fma_f64 v[130:131], v[32:33], s[42:43], v[204:205]
	v_mul_f64 v[148:149], v[229:230], s[0:1]
	v_mul_f64 v[34:35], v[34:35], s[40:41]
	v_add_f64 v[56:57], v[56:57], v[58:59]
	v_fma_f64 v[58:59], v[24:25], s[36:37], v[62:63]
	v_add_f64 v[66:67], v[66:67], v[46:47]
	v_fma_f64 v[30:31], v[30:31], s[34:35], v[52:53]
	;; [unrolled: 2-line block ×4, first 2 shown]
	v_mul_f64 v[130:131], v[150:151], s[28:29]
	v_add_f64 v[56:57], v[58:59], v[56:57]
	v_fma_f64 v[48:49], v[233:234], s[18:19], -v[48:49]
	v_mul_f64 v[58:59], v[247:248], s[20:21]
	v_fma_f64 v[28:29], v[28:29], s[42:43], v[116:117]
	v_add_f64 v[50:51], v[60:61], v[50:51]
	v_fma_f64 v[60:61], v[227:228], s[0:1], v[34:35]
	v_add_f64 v[30:31], v[110:111], v[30:31]
	;; [unrolled: 2-line block ×4, first 2 shown]
	v_fma_f64 v[66:67], v[32:33], s[44:45], v[58:59]
	v_mul_f64 v[150:151], v[22:23], s[16:17]
	v_add_f64 v[50:51], v[60:61], v[50:51]
	v_mul_f64 v[60:61], v[22:23], s[0:1]
	v_mul_f64 v[48:49], v[14:15], s[0:1]
	;; [unrolled: 1-line block ×3, first 2 shown]
	v_add_f64 v[30:31], v[28:29], v[30:31]
	v_mul_f64 v[184:185], v[14:15], s[18:19]
	v_add_f64 v[28:29], v[66:67], v[52:53]
	v_mul_f64 v[52:53], v[14:15], s[20:21]
	;; [unrolled: 2-line block ×3, first 2 shown]
	v_mul_f64 v[22:23], v[22:23], s[20:21]
	v_fma_f64 v[24:25], v[24:25], s[46:47], v[62:63]
	v_fma_f64 v[14:15], v[14:15], s[22:23], -v[206:207]
	v_mul_f64 v[62:63], v[12:13], s[22:23]
	v_add_f64 v[30:31], v[54:55], v[30:31]
	v_fma_f64 v[128:129], v[10:11], s[18:19], -v[128:129]
	v_mul_f64 v[56:57], v[10:11], s[16:17]
	v_mul_f64 v[54:55], v[10:11], s[20:21]
	v_add_f64 v[22:23], v[38:39], v[22:23]
	v_fma_f64 v[18:19], v[18:19], s[40:41], v[148:149]
	v_add_f64 v[14:15], v[108:109], v[14:15]
	v_add_f64 v[40:41], v[40:41], v[62:63]
	v_mul_f64 v[62:63], v[8:9], s[0:1]
	v_mul_f64 v[38:39], v[10:11], s[24:25]
	;; [unrolled: 1-line block ×3, first 2 shown]
	v_add_f64 v[24:25], v[24:25], v[30:31]
	v_add_f64 v[22:23], v[110:111], v[22:23]
	v_fma_f64 v[64:65], v[4:5], s[16:17], -v[64:65]
	v_add_f64 v[14:15], v[128:129], v[14:15]
	v_add_f64 v[52:53], v[52:53], -v[194:195]
	v_add_f64 v[36:37], v[36:37], v[62:63]
	v_mul_f64 v[62:63], v[243:244], s[18:19]
	v_mul_f64 v[30:31], v[4:5], s[18:19]
	v_mul_f64 v[128:129], v[8:9], s[18:19]
	v_add_f64 v[22:23], v[40:41], v[22:23]
	v_mul_f64 v[40:41], v[4:5], s[24:25]
	v_add_f64 v[18:19], v[18:19], v[24:25]
	v_mul_f64 v[24:25], v[8:9], s[24:25]
	;; [unrolled: 2-line block ×3, first 2 shown]
	v_mul_f64 v[148:149], v[8:9], s[20:21]
	v_fma_f64 v[8:9], v[239:240], s[24:25], -v[118:119]
	v_add_f64 v[62:63], v[202:203], v[62:63]
	v_mul_f64 v[118:119], v[229:230], s[24:25]
	v_mul_f64 v[4:5], v[4:5], s[0:1]
	v_add_f64 v[22:23], v[36:37], v[22:23]
	v_add_f64 v[10:11], v[10:11], -v[190:191]
	v_add_f64 v[52:53], v[108:109], v[52:53]
	v_mul_f64 v[204:205], v[239:240], s[18:19]
	v_fma_f64 v[32:33], v[32:33], s[28:29], v[58:59]
	v_mul_f64 v[58:59], v[12:13], s[16:17]
	v_add_f64 v[118:119], v[200:201], v[118:119]
	v_add_f64 v[4:5], v[4:5], -v[196:197]
	v_add_f64 v[22:23], v[62:63], v[22:23]
	v_mul_f64 v[62:63], v[247:248], s[16:17]
	v_add_f64 v[10:11], v[10:11], v[52:53]
	v_mul_f64 v[66:67], v[12:13], s[20:21]
	v_mul_f64 v[12:13], v[12:13], s[24:25]
	v_add_f64 v[8:9], v[8:9], v[14:15]
	v_fma_f64 v[34:35], v[227:228], s[0:1], -v[34:35]
	v_add_f64 v[192:193], v[204:205], -v[192:193]
	v_add_f64 v[22:23], v[118:119], v[22:23]
	v_add_f64 v[62:63], v[198:199], v[62:63]
	;; [unrolled: 1-line block ×5, first 2 shown]
	v_mul_f64 v[202:203], v[243:244], s[0:1]
	v_add_f64 v[34:35], v[34:35], v[8:9]
	v_add_f64 v[148:149], v[251:252], v[148:149]
	v_add_f64 v[38:39], v[38:39], -v[225:226]
	v_add_f64 v[8:9], v[62:63], v[22:23]
	v_add_f64 v[192:193], v[192:193], v[4:5]
	;; [unrolled: 1-line block ×7, first 2 shown]
	v_add_f64 v[150:151], v[184:185], -v[223:224]
	v_mul_f64 v[200:201], v[243:244], s[22:23]
	v_mul_f64 v[196:197], v[227:228], s[22:23]
	;; [unrolled: 1-line block ×3, first 2 shown]
	v_add_f64 v[12:13], v[12:13], v[16:17]
	v_add_f64 v[16:17], v[211:212], v[66:67]
	;; [unrolled: 1-line block ×6, first 2 shown]
	v_mul_f64 v[204:205], v[227:228], s[16:17]
	v_mul_f64 v[206:207], v[227:228], s[24:25]
	;; [unrolled: 1-line block ×3, first 2 shown]
	v_add_f64 v[0:1], v[0:1], v[202:203]
	v_add_f64 v[12:13], v[148:149], v[12:13]
	;; [unrolled: 1-line block ×6, first 2 shown]
	v_mul_f64 v[190:191], v[239:240], s[0:1]
	v_add_f64 v[22:23], v[64:65], -v[231:232]
	v_add_f64 v[38:39], v[38:39], v[66:67]
	v_mul_f64 v[118:119], v[229:230], s[18:19]
	v_add_f64 v[2:3], v[2:3], v[227:228]
	v_add_f64 v[0:1], v[0:1], v[12:13]
	;; [unrolled: 1-line block ×6, first 2 shown]
	v_add_f64 v[188:189], v[206:207], -v[188:189]
	v_mul_f64 v[206:207], v[247:248], s[0:1]
	v_add_f64 v[24:25], v[190:191], -v[237:238]
	v_add_f64 v[22:23], v[22:23], v[38:39]
	v_add_f64 v[0:1], v[2:3], v[0:1]
	;; [unrolled: 1-line block ×6, first 2 shown]
	v_add_f64 v[20:21], v[204:205], -v[245:246]
	v_add_f64 v[40:41], v[40:41], -v[209:210]
	v_add_f64 v[22:23], v[24:25], v[22:23]
	v_add_f64 v[24:25], v[249:250], v[206:207]
	v_mov_b32_e32 v207, v71
	v_mov_b32_e32 v206, v70
	;; [unrolled: 1-line block ×4, first 2 shown]
	buffer_load_dword v66, off, s[52:55], 0 offset:376 ; 4-byte Folded Reload
	buffer_load_dword v67, off, s[52:55], 0 offset:380 ; 4-byte Folded Reload
	;; [unrolled: 1-line block ×8, first 2 shown]
	v_add_f64 v[2:3], v[2:3], v[12:13]
	v_add_f64 v[12:13], v[16:17], v[162:163]
	;; [unrolled: 1-line block ×3, first 2 shown]
	buffer_load_dword v18, off, s[52:55], 0 offset:416 ; 4-byte Folded Reload
	buffer_load_dword v19, off, s[52:55], 0 offset:420 ; 4-byte Folded Reload
	v_mul_f64 v[36:37], v[243:244], s[20:21]
	v_mul_f64 v[52:53], v[229:230], s[22:23]
	;; [unrolled: 1-line block ×5, first 2 shown]
	v_add_f64 v[12:13], v[12:13], v[158:159]
	v_add_f64 v[16:17], v[16:17], v[156:157]
	v_fma_f64 v[130:131], v[233:234], s[20:21], -v[130:131]
	v_mul_f64 v[194:195], v[239:240], s[20:21]
	v_mul_f64 v[14:15], v[239:240], s[22:23]
	v_add_f64 v[6:7], v[6:7], v[243:244]
	v_mul_f64 v[229:230], v[233:234], s[0:1]
	v_mul_f64 v[239:240], v[233:234], s[16:17]
	v_add_f64 v[12:13], v[12:13], v[154:155]
	v_add_f64 v[16:17], v[16:17], v[152:153]
	v_mul_f64 v[233:234], v[233:234], s[22:23]
	v_add_f64 v[62:63], v[188:189], v[192:193]
	v_add_f64 v[14:15], v[14:15], -v[213:214]
	v_add_f64 v[32:33], v[239:240], -v[186:187]
	v_add_f64 v[12:13], v[12:13], v[146:147]
	v_add_f64 v[16:17], v[16:17], v[144:145]
	v_add_f64 v[38:39], v[233:234], -v[253:254]
	v_add_f64 v[12:13], v[12:13], v[142:143]
	v_add_f64 v[16:17], v[16:17], v[140:141]
	s_waitcnt vmcnt(2)
	v_add_f64 v[60:61], v[64:65], v[60:61]
	s_waitcnt vmcnt(0)
	v_add_f64 v[18:19], v[48:49], -v[18:19]
	buffer_load_dword v48, off, s[52:55], 0 offset:320 ; 4-byte Folded Reload
	buffer_load_dword v49, off, s[52:55], 0 offset:324 ; 4-byte Folded Reload
	v_add_f64 v[60:61], v[110:111], v[60:61]
	v_add_f64 v[18:19], v[108:109], v[18:19]
	s_waitcnt vmcnt(0)
	v_add_f64 v[48:49], v[116:117], -v[48:49]
	buffer_load_dword v116, off, s[52:55], 0 offset:344 ; 4-byte Folded Reload
	buffer_load_dword v117, off, s[52:55], 0 offset:348 ; 4-byte Folded Reload
	;; [unrolled: 1-line block ×6, first 2 shown]
	v_add_f64 v[48:49], v[108:109], v[48:49]
	s_waitcnt vmcnt(0)
	v_add_f64 v[54:55], v[54:55], -v[64:65]
	buffer_load_dword v64, off, s[52:55], 0 offset:296 ; 4-byte Folded Reload
	buffer_load_dword v65, off, s[52:55], 0 offset:300 ; 4-byte Folded Reload
	v_add_f64 v[48:49], v[54:55], v[48:49]
	s_waitcnt vmcnt(0)
	v_add_f64 v[58:59], v[64:65], v[58:59]
	buffer_load_dword v64, off, s[52:55], 0 offset:440 ; 4-byte Folded Reload
	buffer_load_dword v65, off, s[52:55], 0 offset:444 ; 4-byte Folded Reload
	v_add_f64 v[58:59], v[58:59], v[60:61]
	s_waitcnt vmcnt(0)
	v_add_f64 v[56:57], v[56:57], -v[64:65]
	buffer_load_dword v64, off, s[52:55], 0 offset:312 ; 4-byte Folded Reload
	buffer_load_dword v65, off, s[52:55], 0 offset:316 ; 4-byte Folded Reload
	buffer_load_dword v60, off, s[52:55], 0 offset:448 ; 4-byte Folded Reload
	buffer_load_dword v61, off, s[52:55], 0 offset:452 ; 4-byte Folded Reload
	buffer_load_dword v54, off, s[52:55], 0 offset:304 ; 4-byte Folded Reload
	buffer_load_dword v55, off, s[52:55], 0 offset:308 ; 4-byte Folded Reload
	v_add_f64 v[18:19], v[56:57], v[18:19]
	buffer_load_dword v56, off, s[52:55], 0 offset:424 ; 4-byte Folded Reload
	buffer_load_dword v57, off, s[52:55], 0 offset:428 ; 4-byte Folded Reload
	s_waitcnt vmcnt(6)
	v_add_f64 v[64:65], v[64:65], v[128:129]
	s_waitcnt vmcnt(4)
	v_add_f64 v[30:31], v[30:31], -v[60:61]
	s_waitcnt vmcnt(2)
	v_add_f64 v[36:37], v[54:55], v[36:37]
	v_add_f64 v[54:55], v[64:65], v[58:59]
	v_add_f64 v[18:19], v[30:31], v[18:19]
	v_add_f64 v[30:31], v[40:41], v[48:49]
	buffer_load_dword v48, off, s[52:55], 0 offset:288 ; 4-byte Folded Reload
	buffer_load_dword v49, off, s[52:55], 0 offset:292 ; 4-byte Folded Reload
	s_waitcnt vmcnt(2)
	v_add_f64 v[56:57], v[194:195], -v[56:57]
	v_add_f64 v[40:41], v[198:199], -v[217:218]
	v_add_f64 v[36:37], v[36:37], v[54:55]
	v_add_f64 v[14:15], v[14:15], v[30:31]
	v_add_f64 v[30:31], v[229:230], -v[219:220]
	v_add_f64 v[18:19], v[56:57], v[18:19]
	v_add_f64 v[14:15], v[40:41], v[14:15]
	;; [unrolled: 1-line block ×4, first 2 shown]
	s_waitcnt vmcnt(0)
	v_add_f64 v[48:49], v[48:49], v[52:53]
	buffer_load_dword v52, off, s[52:55], 0 offset:408 ; 4-byte Folded Reload
	buffer_load_dword v53, off, s[52:55], 0 offset:412 ; 4-byte Folded Reload
	;; [unrolled: 1-line block ×4, first 2 shown]
	v_add_f64 v[36:37], v[48:49], v[36:37]
	buffer_load_dword v48, off, s[52:55], 0 offset:392 ; 4-byte Folded Reload
	buffer_load_dword v49, off, s[52:55], 0 offset:396 ; 4-byte Folded Reload
	s_waitcnt vmcnt(4)
	v_add_f64 v[52:53], v[196:197], -v[52:53]
	s_waitcnt vmcnt(2)
	v_add_f64 v[50:51], v[54:55], v[50:51]
	v_add_f64 v[54:55], v[16:17], v[126:127]
	;; [unrolled: 1-line block ×4, first 2 shown]
	s_waitcnt vmcnt(0)
	v_add_f64 v[10:11], v[10:11], -v[48:49]
	v_add_f64 v[48:49], v[12:13], v[124:125]
	v_add_f64 v[12:13], v[6:7], v[0:1]
	buffer_load_dword v128, off, s[52:55], 0 offset:360 ; 4-byte Folded Reload
	buffer_load_dword v129, off, s[52:55], 0 offset:364 ; 4-byte Folded Reload
	;; [unrolled: 1-line block ×6, first 2 shown]
	v_add_f64 v[18:19], v[52:53], v[18:19]
	v_add_f64 v[22:23], v[54:55], v[122:123]
	;; [unrolled: 1-line block ×5, first 2 shown]
	v_mov_b32_e32 v62, v132
	v_mov_b32_e32 v63, v133
	;; [unrolled: 1-line block ×3, first 2 shown]
	v_add_f64 v[18:19], v[10:11], v[18:19]
	v_add_f64 v[10:11], v[38:39], v[40:41]
	v_mov_b32_e32 v65, v135
	s_waitcnt vmcnt(1)
	v_mul_u32_u24_e32 v0, 0x75, v0
	s_waitcnt vmcnt(0)
	v_add_lshl_u32 v0, v0, v1, 4
	ds_write_b128 v0, v[22:25]
	ds_write_b128 v0, v[18:21] offset:144
	ds_write_b128 v0, v[14:17] offset:288
	;; [unrolled: 1-line block ×12, first 2 shown]
.LBB0_5:
	s_or_b64 exec, exec, s[26:27]
	v_lshlrev_b32_e32 v41, 5, v208
	s_waitcnt lgkmcnt(0)
	s_barrier
	ds_read_b128 v[5:8], v255
	ds_read_b128 v[9:12], v255 offset:5616
	ds_read_b128 v[13:16], v255 offset:11232
	;; [unrolled: 1-line block ×8, first 2 shown]
	global_load_dwordx4 v[108:111], v41, s[14:15] offset:1840
	global_load_dwordx4 v[112:115], v41, s[14:15] offset:1824
	v_lshlrev_b32_e32 v0, 4, v208
	v_add_co_u32_e64 v0, s[0:1], s12, v0
	v_mov_b32_e32 v1, s13
	v_addc_co_u32_e64 v1, s[0:1], 0, v1, s[0:1]
	v_add_co_u32_e64 v3, s[0:1], s14, v41
	v_mov_b32_e32 v2, s15
	v_addc_co_u32_e64 v4, s[0:1], 0, v2, s[0:1]
	s_mov_b32 s0, 0x8c09
	s_mov_b32 s4, 0xe8584caa
	;; [unrolled: 1-line block ×5, first 2 shown]
	s_movk_i32 s12, 0x15c0
	s_movk_i32 s13, 0x1000
	s_waitcnt vmcnt(0) lgkmcnt(7)
	v_mul_f64 v[44:45], v[11:12], v[114:115]
	v_fma_f64 v[44:45], v[9:10], v[112:113], -v[44:45]
	v_mul_f64 v[9:10], v[9:10], v[114:115]
	v_fma_f64 v[46:47], v[11:12], v[112:113], v[9:10]
	s_waitcnt lgkmcnt(6)
	v_mul_f64 v[9:10], v[15:16], v[110:111]
	v_fma_f64 v[48:49], v[13:14], v[108:109], -v[9:10]
	v_mul_f64 v[9:10], v[13:14], v[110:111]
	v_add_f64 v[11:12], v[44:45], v[48:49]
	v_fma_f64 v[15:16], v[15:16], v[108:109], v[9:10]
	s_waitcnt lgkmcnt(4)
	v_mul_f64 v[9:10], v[23:24], v[114:115]
	v_fma_f64 v[11:12], v[11:12], -0.5, v[5:6]
	v_add_f64 v[13:14], v[46:47], -v[15:16]
	v_fma_f64 v[50:51], v[21:22], v[112:113], -v[9:10]
	v_mul_f64 v[9:10], v[21:22], v[114:115]
	v_add_f64 v[21:22], v[44:45], -v[48:49]
	v_fma_f64 v[52:53], v[23:24], v[112:113], v[9:10]
	s_waitcnt lgkmcnt(3)
	v_mul_f64 v[9:10], v[27:28], v[110:111]
	v_fma_f64 v[54:55], v[25:26], v[108:109], -v[9:10]
	v_mul_f64 v[9:10], v[25:26], v[110:111]
	v_add_f64 v[23:24], v[50:51], v[54:55]
	v_fma_f64 v[27:28], v[27:28], v[108:109], v[9:10]
	v_mul_u32_u24_sdwa v9, v42, s0 dst_sel:DWORD dst_unused:UNUSED_PAD src0_sel:WORD_0 src1_sel:DWORD
	v_lshrrev_b32_e32 v9, 22, v9
	v_mul_lo_u16_e32 v9, 0x75, v9
	v_sub_u16_e32 v41, v42, v9
	v_lshlrev_b16_e32 v9, 5, v41
	v_add_co_u32_e64 v9, s[0:1], s14, v9
	v_addc_co_u32_e64 v10, s[0:1], 0, v2, s[0:1]
	global_load_dwordx4 v[120:123], v[9:10], off offset:1840
	global_load_dwordx4 v[124:127], v[9:10], off offset:1824
	v_fma_f64 v[23:24], v[23:24], -0.5, v[17:18]
	v_add_f64 v[25:26], v[52:53], -v[27:28]
	s_waitcnt vmcnt(0) lgkmcnt(0)
	s_barrier
	v_mul_f64 v[9:10], v[35:36], v[126:127]
	v_fma_f64 v[56:57], v[33:34], v[124:125], -v[9:10]
	v_mul_f64 v[9:10], v[33:34], v[126:127]
	v_add_f64 v[33:34], v[50:51], -v[54:55]
	v_fma_f64 v[58:59], v[35:36], v[124:125], v[9:10]
	v_mul_f64 v[9:10], v[39:40], v[122:123]
	v_fma_f64 v[60:61], v[37:38], v[120:121], -v[9:10]
	v_mul_f64 v[9:10], v[37:38], v[122:123]
	v_add_f64 v[35:36], v[56:57], v[60:61]
	v_fma_f64 v[39:40], v[39:40], v[120:121], v[9:10]
	v_add_f64 v[9:10], v[5:6], v[44:45]
	v_fma_f64 v[5:6], v[13:14], s[4:5], v[11:12]
	v_fma_f64 v[13:14], v[13:14], s[6:7], v[11:12]
	v_add_f64 v[11:12], v[7:8], v[46:47]
	v_add_f64 v[44:45], v[56:57], -v[60:61]
	v_fma_f64 v[35:36], v[35:36], -0.5, v[29:30]
	v_add_f64 v[37:38], v[58:59], -v[39:40]
	v_add_f64 v[9:10], v[9:10], v[48:49]
	v_add_f64 v[11:12], v[11:12], v[15:16]
	;; [unrolled: 1-line block ×3, first 2 shown]
	v_fma_f64 v[15:16], v[15:16], -0.5, v[7:8]
	v_fma_f64 v[7:8], v[21:22], s[6:7], v[15:16]
	v_fma_f64 v[15:16], v[21:22], s[4:5], v[15:16]
	v_add_f64 v[21:22], v[17:18], v[50:51]
	v_fma_f64 v[17:18], v[25:26], s[4:5], v[23:24]
	v_fma_f64 v[25:26], v[25:26], s[6:7], v[23:24]
	v_add_f64 v[23:24], v[19:20], v[52:53]
	v_add_f64 v[21:22], v[21:22], v[54:55]
	;; [unrolled: 1-line block ×4, first 2 shown]
	v_fma_f64 v[27:28], v[27:28], -0.5, v[19:20]
	v_fma_f64 v[19:20], v[33:34], s[6:7], v[27:28]
	v_fma_f64 v[27:28], v[33:34], s[4:5], v[27:28]
	v_add_f64 v[33:34], v[29:30], v[56:57]
	v_fma_f64 v[29:30], v[37:38], s[4:5], v[35:36]
	v_fma_f64 v[37:38], v[37:38], s[6:7], v[35:36]
	v_add_f64 v[35:36], v[31:32], v[58:59]
	ds_write_b128 v255, v[9:12]
	ds_write_b128 v255, v[5:8] offset:1872
	ds_write_b128 v255, v[13:16] offset:3744
	ds_write_b128 v255, v[21:24] offset:5616
	ds_write_b128 v255, v[17:20] offset:7488
	ds_write_b128 v255, v[25:28] offset:9360
	v_add_co_u32_e64 v5, s[0:1], s12, v3
	v_addc_co_u32_e64 v6, s[0:1], 0, v4, s[0:1]
	v_add_f64 v[33:34], v[33:34], v[60:61]
	v_add_co_u32_e64 v3, s[0:1], s13, v3
	v_add_f64 v[35:36], v[35:36], v[39:40]
	v_add_f64 v[39:40], v[58:59], v[39:40]
	v_lshlrev_b32_e32 v22, 4, v41
	v_addc_co_u32_e64 v4, s[0:1], 0, v4, s[0:1]
	v_fma_f64 v[39:40], v[39:40], -0.5, v[31:32]
	v_fma_f64 v[31:32], v[44:45], s[6:7], v[39:40]
	v_fma_f64 v[39:40], v[44:45], s[4:5], v[39:40]
	ds_write_b128 v22, v[33:36] offset:11232
	ds_write_b128 v22, v[29:32] offset:13104
	;; [unrolled: 1-line block ×3, first 2 shown]
	s_waitcnt lgkmcnt(0)
	s_barrier
	ds_read_b128 v[172:175], v255
	ds_read_b128 v[152:155], v255 offset:5616
	ds_read_b128 v[148:151], v255 offset:11232
	;; [unrolled: 1-line block ×8, first 2 shown]
	global_load_dwordx4 v[144:147], v[3:4], off offset:1472
	global_load_dwordx4 v[140:143], v[5:6], off offset:16
	s_waitcnt vmcnt(1) lgkmcnt(7)
	v_mul_f64 v[3:4], v[154:155], v[146:147]
	v_fma_f64 v[8:9], v[152:153], v[144:145], -v[3:4]
	v_mul_f64 v[3:4], v[152:153], v[146:147]
	v_fma_f64 v[12:13], v[154:155], v[144:145], v[3:4]
	s_waitcnt vmcnt(0) lgkmcnt(6)
	v_mul_f64 v[3:4], v[150:151], v[142:143]
	v_fma_f64 v[14:15], v[148:149], v[140:141], -v[3:4]
	v_mul_f64 v[3:4], v[148:149], v[142:143]
	v_fma_f64 v[16:17], v[150:151], v[140:141], v[3:4]
	v_lshlrev_b32_e32 v3, 5, v43
	v_add_co_u32_e64 v5, s[0:1], s14, v3
	v_addc_co_u32_e64 v6, s[0:1], 0, v2, s[0:1]
	v_add_co_u32_e64 v3, s[0:1], s12, v5
	v_addc_co_u32_e64 v4, s[0:1], 0, v6, s[0:1]
	;; [unrolled: 2-line block ×3, first 2 shown]
	global_load_dwordx4 v[152:155], v[5:6], off offset:1472
	global_load_dwordx4 v[148:151], v[3:4], off offset:16
	v_add_f64 v[10:11], v[12:13], -v[16:17]
	s_waitcnt vmcnt(1) lgkmcnt(4)
	v_mul_f64 v[3:4], v[162:163], v[154:155]
	v_fma_f64 v[20:21], v[160:161], v[152:153], -v[3:4]
	v_mul_f64 v[3:4], v[160:161], v[154:155]
	v_fma_f64 v[25:26], v[162:163], v[152:153], v[3:4]
	s_waitcnt vmcnt(0) lgkmcnt(3)
	v_mul_f64 v[3:4], v[158:159], v[150:151]
	v_fma_f64 v[27:28], v[156:157], v[148:149], -v[3:4]
	v_mul_f64 v[3:4], v[156:157], v[150:151]
	v_fma_f64 v[29:30], v[158:159], v[148:149], v[3:4]
	v_lshlrev_b32_e32 v3, 5, v42
	v_add_co_u32_e64 v4, s[0:1], s14, v3
	v_addc_co_u32_e64 v5, s[0:1], 0, v2, s[0:1]
	v_add_co_u32_e64 v2, s[0:1], s12, v4
	v_addc_co_u32_e64 v3, s[0:1], 0, v5, s[0:1]
	;; [unrolled: 2-line block ×3, first 2 shown]
	global_load_dwordx4 v[160:163], v[4:5], off offset:1472
	global_load_dwordx4 v[156:159], v[2:3], off offset:16
	v_add_f64 v[4:5], v[8:9], v[14:15]
	v_add_f64 v[23:24], v[25:26], -v[29:30]
	s_movk_i32 s0, 0x41d0
	v_fma_f64 v[4:5], v[4:5], -0.5, v[172:173]
	v_fma_f64 v[6:7], v[10:11], s[4:5], v[4:5]
	v_fma_f64 v[10:11], v[10:11], s[6:7], v[4:5]
	v_add_f64 v[4:5], v[174:175], v[12:13]
	v_add_f64 v[12:13], v[12:13], v[16:17]
	;; [unrolled: 1-line block ×4, first 2 shown]
	v_fma_f64 v[12:13], v[12:13], -0.5, v[174:175]
	v_fma_f64 v[16:17], v[16:17], -0.5, v[168:169]
	v_fma_f64 v[18:19], v[23:24], s[4:5], v[16:17]
	v_fma_f64 v[23:24], v[23:24], s[6:7], v[16:17]
	v_add_f64 v[16:17], v[170:171], v[25:26]
	v_add_f64 v[25:26], v[25:26], v[29:30]
	;; [unrolled: 1-line block ×3, first 2 shown]
	v_fma_f64 v[25:26], v[25:26], -0.5, v[170:171]
	s_waitcnt vmcnt(1) lgkmcnt(1)
	v_mul_f64 v[2:3], v[182:183], v[162:163]
	v_fma_f64 v[33:34], v[180:181], v[160:161], -v[2:3]
	v_mul_f64 v[2:3], v[180:181], v[162:163]
	v_fma_f64 v[37:38], v[182:183], v[160:161], v[2:3]
	s_waitcnt vmcnt(0) lgkmcnt(0)
	v_mul_f64 v[2:3], v[178:179], v[158:159]
	v_fma_f64 v[39:40], v[176:177], v[156:157], -v[2:3]
	v_mul_f64 v[2:3], v[176:177], v[158:159]
	v_add_f64 v[29:30], v[33:34], v[39:40]
	v_fma_f64 v[41:42], v[178:179], v[156:157], v[2:3]
	v_add_f64 v[2:3], v[172:173], v[8:9]
	v_fma_f64 v[29:30], v[29:30], -0.5, v[164:165]
	v_add_f64 v[35:36], v[37:38], -v[41:42]
	v_add_f64 v[2:3], v[2:3], v[14:15]
	v_add_f64 v[14:15], v[8:9], -v[14:15]
	v_fma_f64 v[31:32], v[35:36], s[4:5], v[29:30]
	v_fma_f64 v[35:36], v[35:36], s[6:7], v[29:30]
	;; [unrolled: 1-line block ×4, first 2 shown]
	v_add_f64 v[14:15], v[168:169], v[20:21]
	v_add_f64 v[29:30], v[166:167], v[37:38]
	;; [unrolled: 1-line block ×4, first 2 shown]
	v_add_f64 v[27:28], v[20:21], -v[27:28]
	v_fma_f64 v[37:38], v[37:38], -0.5, v[166:167]
	v_add_f64 v[29:30], v[29:30], v[41:42]
	v_fma_f64 v[20:21], v[27:28], s[6:7], v[25:26]
	v_fma_f64 v[25:26], v[27:28], s[4:5], v[25:26]
	v_add_f64 v[27:28], v[164:165], v[33:34]
	v_add_f64 v[27:28], v[27:28], v[39:40]
	v_add_f64 v[39:40], v[33:34], -v[39:40]
	v_fma_f64 v[33:34], v[39:40], s[6:7], v[37:38]
	v_fma_f64 v[37:38], v[39:40], s[4:5], v[37:38]
	ds_write_b128 v255, v[2:5]
	ds_write_b128 v255, v[6:9] offset:5616
	ds_write_b128 v255, v[10:13] offset:11232
	;; [unrolled: 1-line block ×8, first 2 shown]
	v_add_co_u32_e64 v14, s[0:1], s0, v0
	v_addc_co_u32_e64 v15, s[0:1], 0, v1, s[0:1]
	s_movk_i32 s0, 0x4000
	v_add_co_u32_e64 v6, s[0:1], s0, v0
	v_addc_co_u32_e64 v7, s[0:1], 0, v1, s[0:1]
	s_waitcnt lgkmcnt(0)
	s_barrier
	global_load_dwordx4 v[6:9], v[6:7], off offset:464
	ds_read_b128 v[2:5], v255
	s_movk_i32 s0, 0x5000
	v_add_co_u32_e64 v16, s[0:1], s0, v0
	v_addc_co_u32_e64 v17, s[0:1], 0, v1, s[0:1]
	s_movk_i32 s0, 0x6000
	v_add_co_u32_e64 v18, s[0:1], s0, v0
	v_addc_co_u32_e64 v19, s[0:1], 0, v1, s[0:1]
	s_movk_i32 s0, 0x7000
	s_waitcnt vmcnt(0) lgkmcnt(0)
	v_mul_f64 v[10:11], v[4:5], v[8:9]
	v_fma_f64 v[10:11], v[2:3], v[6:7], -v[10:11]
	v_mul_f64 v[2:3], v[2:3], v[8:9]
	v_fma_f64 v[12:13], v[4:5], v[6:7], v[2:3]
	global_load_dwordx4 v[6:9], v[16:17], off offset:1984
	ds_read_b128 v[2:5], v255 offset:5616
	ds_write_b128 v255, v[10:13]
	s_waitcnt vmcnt(0) lgkmcnt(1)
	v_mul_f64 v[10:11], v[4:5], v[8:9]
	v_fma_f64 v[10:11], v[2:3], v[6:7], -v[10:11]
	v_mul_f64 v[2:3], v[2:3], v[8:9]
	v_fma_f64 v[12:13], v[4:5], v[6:7], v[2:3]
	global_load_dwordx4 v[6:9], v[18:19], off offset:3504
	ds_read_b128 v[2:5], v255 offset:11232
	ds_write_b128 v255, v[10:13] offset:5616
	s_waitcnt vmcnt(0) lgkmcnt(1)
	v_mul_f64 v[10:11], v[4:5], v[8:9]
	v_fma_f64 v[10:11], v[2:3], v[6:7], -v[10:11]
	v_mul_f64 v[2:3], v[2:3], v[8:9]
	v_fma_f64 v[12:13], v[4:5], v[6:7], v[2:3]
	global_load_dwordx4 v[6:9], v[14:15], off offset:1872
	ds_read_b128 v[2:5], v255 offset:1872
	ds_write_b128 v255, v[10:13] offset:11232
	;; [unrolled: 8-line block ×3, first 2 shown]
	s_waitcnt vmcnt(0) lgkmcnt(1)
	v_mul_f64 v[10:11], v[4:5], v[8:9]
	v_fma_f64 v[10:11], v[2:3], v[6:7], -v[10:11]
	v_mul_f64 v[2:3], v[2:3], v[8:9]
	v_fma_f64 v[12:13], v[4:5], v[6:7], v[2:3]
	ds_read_b128 v[2:5], v255 offset:13104
	ds_write_b128 v255, v[10:13] offset:7488
	v_add_co_u32_e64 v12, s[0:1], s0, v0
	v_addc_co_u32_e64 v13, s[0:1], 0, v1, s[0:1]
	global_load_dwordx4 v[6:9], v[12:13], off offset:1280
	s_waitcnt vmcnt(0) lgkmcnt(1)
	v_mul_f64 v[0:1], v[4:5], v[8:9]
	v_fma_f64 v[0:1], v[2:3], v[6:7], -v[0:1]
	v_mul_f64 v[2:3], v[2:3], v[8:9]
	v_fma_f64 v[2:3], v[4:5], v[6:7], v[2:3]
	global_load_dwordx4 v[4:7], v[14:15], off offset:3744
	ds_write_b128 v255, v[0:3] offset:13104
	ds_read_b128 v[0:3], v255 offset:3744
	s_waitcnt vmcnt(0) lgkmcnt(0)
	v_mul_f64 v[8:9], v[2:3], v[6:7]
	v_fma_f64 v[8:9], v[0:1], v[4:5], -v[8:9]
	v_mul_f64 v[0:1], v[0:1], v[6:7]
	v_fma_f64 v[10:11], v[2:3], v[4:5], v[0:1]
	global_load_dwordx4 v[4:7], v[18:19], off offset:1632
	ds_read_b128 v[0:3], v255 offset:9360
	ds_write_b128 v255, v[8:11] offset:3744
	s_waitcnt vmcnt(0) lgkmcnt(1)
	v_mul_f64 v[8:9], v[2:3], v[6:7]
	v_fma_f64 v[8:9], v[0:1], v[4:5], -v[8:9]
	v_mul_f64 v[0:1], v[0:1], v[6:7]
	v_fma_f64 v[10:11], v[2:3], v[4:5], v[0:1]
	global_load_dwordx4 v[4:7], v[12:13], off offset:3152
	ds_read_b128 v[0:3], v255 offset:14976
	ds_write_b128 v255, v[8:11] offset:9360
	s_waitcnt vmcnt(0) lgkmcnt(1)
	v_mul_f64 v[8:9], v[2:3], v[6:7]
	v_fma_f64 v[8:9], v[0:1], v[4:5], -v[8:9]
	v_mul_f64 v[0:1], v[0:1], v[6:7]
	v_fma_f64 v[10:11], v[2:3], v[4:5], v[0:1]
	ds_write_b128 v255, v[8:11] offset:14976
	s_waitcnt lgkmcnt(0)
	s_barrier
	ds_read_b128 v[0:3], v255
	ds_read_b128 v[4:7], v255 offset:5616
	ds_read_b128 v[8:11], v255 offset:11232
	;; [unrolled: 1-line block ×8, first 2 shown]
	s_waitcnt lgkmcnt(7)
	v_add_f64 v[20:21], v[0:1], v[4:5]
	s_waitcnt lgkmcnt(6)
	v_add_f64 v[41:42], v[6:7], -v[10:11]
	s_waitcnt lgkmcnt(0)
	s_barrier
	v_add_f64 v[39:40], v[20:21], v[8:9]
	v_add_f64 v[20:21], v[4:5], v[8:9]
	v_add_f64 v[4:5], v[4:5], -v[8:9]
	v_fma_f64 v[20:21], v[20:21], -0.5, v[0:1]
	v_fma_f64 v[0:1], v[41:42], s[6:7], v[20:21]
	v_fma_f64 v[43:44], v[41:42], s[4:5], v[20:21]
	v_add_f64 v[20:21], v[2:3], v[6:7]
	v_add_f64 v[6:7], v[6:7], v[10:11]
	;; [unrolled: 1-line block ×3, first 2 shown]
	v_fma_f64 v[6:7], v[6:7], -0.5, v[2:3]
	v_add_f64 v[10:11], v[18:19], -v[25:26]
	v_add_f64 v[20:21], v[33:34], -v[37:38]
	v_fma_f64 v[2:3], v[4:5], s[4:5], v[6:7]
	v_fma_f64 v[45:46], v[4:5], s[6:7], v[6:7]
	v_add_f64 v[6:7], v[16:17], v[23:24]
	v_add_f64 v[4:5], v[12:13], v[16:17]
	v_add_f64 v[16:17], v[16:17], -v[23:24]
	v_fma_f64 v[6:7], v[6:7], -0.5, v[12:13]
	v_add_f64 v[4:5], v[4:5], v[23:24]
	v_fma_f64 v[8:9], v[10:11], s[6:7], v[6:7]
	v_fma_f64 v[12:13], v[10:11], s[4:5], v[6:7]
	v_add_f64 v[6:7], v[14:15], v[18:19]
	v_add_f64 v[10:11], v[18:19], v[25:26]
	;; [unrolled: 1-line block ×4, first 2 shown]
	v_fma_f64 v[14:15], v[10:11], -0.5, v[14:15]
	v_fma_f64 v[18:19], v[18:19], -0.5, v[27:28]
	v_fma_f64 v[10:11], v[16:17], s[4:5], v[14:15]
	v_fma_f64 v[14:15], v[16:17], s[6:7], v[14:15]
	v_add_f64 v[16:17], v[27:28], v[31:32]
	v_fma_f64 v[23:24], v[20:21], s[6:7], v[18:19]
	v_fma_f64 v[27:28], v[20:21], s[4:5], v[18:19]
	v_add_f64 v[20:21], v[33:34], v[37:38]
	v_add_f64 v[18:19], v[29:30], v[33:34]
	;; [unrolled: 1-line block ×3, first 2 shown]
	v_fma_f64 v[20:21], v[20:21], -0.5, v[29:30]
	v_add_f64 v[29:30], v[31:32], -v[35:36]
	v_add_f64 v[18:19], v[18:19], v[37:38]
	v_fma_f64 v[25:26], v[29:30], s[4:5], v[20:21]
	v_fma_f64 v[29:30], v[29:30], s[6:7], v[20:21]
	buffer_load_dword v20, off, s[52:55], 0 offset:164 ; 4-byte Folded Reload
	s_waitcnt vmcnt(0)
	ds_write_b128 v20, v[39:42]
	ds_write_b128 v20, v[0:3] offset:16
	ds_write_b128 v20, v[43:46] offset:32
	buffer_load_dword v0, off, s[52:55], 0 offset:168 ; 4-byte Folded Reload
	s_waitcnt vmcnt(0)
	ds_write_b128 v0, v[4:7]
	ds_write_b128 v0, v[8:11] offset:16
	ds_write_b128 v0, v[12:15] offset:32
	;; [unrolled: 5-line block ×3, first 2 shown]
	s_waitcnt lgkmcnt(0)
	s_barrier
	ds_read_b128 v[0:3], v255
	ds_read_b128 v[4:7], v255 offset:5616
	ds_read_b128 v[8:11], v255 offset:11232
	;; [unrolled: 1-line block ×8, first 2 shown]
	s_waitcnt lgkmcnt(7)
	v_mul_f64 v[20:21], v[98:99], v[6:7]
	s_waitcnt lgkmcnt(0)
	s_barrier
	v_fma_f64 v[20:21], v[96:97], v[4:5], v[20:21]
	v_mul_f64 v[4:5], v[98:99], v[4:5]
	v_fma_f64 v[4:5], v[96:97], v[6:7], -v[4:5]
	v_mul_f64 v[6:7], v[86:87], v[10:11]
	v_fma_f64 v[6:7], v[84:85], v[8:9], v[6:7]
	v_mul_f64 v[8:9], v[86:87], v[8:9]
	v_fma_f64 v[8:9], v[84:85], v[10:11], -v[8:9]
	v_mul_f64 v[10:11], v[94:95], v[18:19]
	;; [unrolled: 4-line block ×5, first 2 shown]
	v_fma_f64 v[33:34], v[100:101], v[35:36], v[33:34]
	v_mul_f64 v[35:36], v[102:103], v[35:36]
	v_fma_f64 v[35:36], v[100:101], v[37:38], -v[35:36]
	v_add_f64 v[37:38], v[0:1], v[20:21]
	v_add_f64 v[84:85], v[37:38], v[6:7]
	;; [unrolled: 1-line block ×3, first 2 shown]
	v_fma_f64 v[0:1], v[37:38], -0.5, v[0:1]
	v_add_f64 v[37:38], v[4:5], -v[8:9]
	v_fma_f64 v[88:89], v[37:38], s[6:7], v[0:1]
	v_fma_f64 v[92:93], v[37:38], s[4:5], v[0:1]
	v_add_f64 v[0:1], v[2:3], v[4:5]
	v_add_f64 v[86:87], v[0:1], v[8:9]
	;; [unrolled: 1-line block ×3, first 2 shown]
	v_fma_f64 v[0:1], v[0:1], -0.5, v[2:3]
	v_add_f64 v[2:3], v[20:21], -v[6:7]
	v_fma_f64 v[90:91], v[2:3], s[4:5], v[0:1]
	v_fma_f64 v[94:95], v[2:3], s[6:7], v[0:1]
	v_add_f64 v[0:1], v[12:13], v[10:11]
	v_add_f64 v[2:3], v[16:17], -v[23:24]
	v_add_f64 v[96:97], v[0:1], v[18:19]
	v_add_f64 v[0:1], v[10:11], v[18:19]
	v_fma_f64 v[0:1], v[0:1], -0.5, v[12:13]
	v_fma_f64 v[100:101], v[2:3], s[6:7], v[0:1]
	v_fma_f64 v[104:105], v[2:3], s[4:5], v[0:1]
	v_add_f64 v[0:1], v[14:15], v[16:17]
	v_add_f64 v[2:3], v[10:11], -v[18:19]
	v_add_f64 v[98:99], v[0:1], v[23:24]
	v_add_f64 v[0:1], v[16:17], v[23:24]
	v_fma_f64 v[0:1], v[0:1], -0.5, v[14:15]
	v_fma_f64 v[102:103], v[2:3], s[4:5], v[0:1]
	v_fma_f64 v[106:107], v[2:3], s[6:7], v[0:1]
	v_add_f64 v[0:1], v[27:28], v[25:26]
	v_add_f64 v[2:3], v[31:32], -v[35:36]
	ds_write_b128 v70, v[84:87]
	ds_write_b128 v70, v[88:91] offset:48
	ds_write_b128 v70, v[92:95] offset:96
	ds_write_b128 v71, v[96:99]
	ds_write_b128 v71, v[100:103] offset:48
	ds_write_b128 v71, v[104:107] offset:96
	v_add_f64 v[164:165], v[0:1], v[33:34]
	v_add_f64 v[0:1], v[25:26], v[33:34]
	v_fma_f64 v[0:1], v[0:1], -0.5, v[27:28]
	v_fma_f64 v[168:169], v[2:3], s[6:7], v[0:1]
	v_fma_f64 v[172:173], v[2:3], s[4:5], v[0:1]
	v_add_f64 v[0:1], v[29:30], v[31:32]
	v_add_f64 v[2:3], v[25:26], -v[33:34]
	v_add_f64 v[166:167], v[0:1], v[35:36]
	v_add_f64 v[0:1], v[31:32], v[35:36]
	v_fma_f64 v[0:1], v[0:1], -0.5, v[29:30]
	v_fma_f64 v[170:171], v[2:3], s[4:5], v[0:1]
	v_fma_f64 v[174:175], v[2:3], s[6:7], v[0:1]
	buffer_load_dword v0, off, s[52:55], 0 offset:160 ; 4-byte Folded Reload
	s_waitcnt vmcnt(0)
	ds_write_b128 v0, v[164:167]
	ds_write_b128 v0, v[168:171] offset:48
	ds_write_b128 v0, v[172:175] offset:96
	s_waitcnt lgkmcnt(0)
	s_barrier
	s_and_saveexec_b64 s[0:1], vcc
	s_cbranch_execz .LBB0_7
; %bb.6:
	ds_read_b128 v[84:87], v255
	ds_read_b128 v[88:91], v255 offset:1296
	ds_read_b128 v[92:95], v255 offset:2592
	;; [unrolled: 1-line block ×12, first 2 shown]
.LBB0_7:
	s_or_b64 exec, exec, s[0:1]
	s_waitcnt lgkmcnt(0)
	s_barrier
	s_and_saveexec_b64 s[0:1], vcc
	s_cbranch_execz .LBB0_9
; %bb.8:
	buffer_load_dword v16, off, s[52:55], 0 offset:272 ; 4-byte Folded Reload
	buffer_load_dword v17, off, s[52:55], 0 offset:276 ; 4-byte Folded Reload
	;; [unrolled: 1-line block ×8, first 2 shown]
	v_mul_f64 v[0:1], v[78:79], v[166:167]
	v_mul_f64 v[6:7], v[74:75], v[168:169]
	buffer_load_dword v29, off, s[52:55], 0 offset:192 ; 4-byte Folded Reload
	buffer_load_dword v30, off, s[52:55], 0 offset:196 ; 4-byte Folded Reload
	;; [unrolled: 1-line block ×8, first 2 shown]
	v_mul_f64 v[2:3], v[74:75], v[170:171]
	v_mul_f64 v[4:5], v[78:79], v[164:165]
	;; [unrolled: 1-line block ×3, first 2 shown]
	v_mov_b32_e32 v56, v66
	v_fma_f64 v[74:75], v[76:77], v[164:165], v[0:1]
	v_mul_f64 v[0:1], v[82:83], v[172:173]
	v_fma_f64 v[82:83], v[72:73], v[170:171], -v[6:7]
	v_mov_b32_e32 v57, v67
	v_fma_f64 v[70:71], v[72:73], v[168:169], v[2:3]
	v_mul_f64 v[2:3], v[64:65], v[102:103]
	v_fma_f64 v[164:165], v[76:77], v[166:167], -v[4:5]
	v_mul_f64 v[4:5], v[64:65], v[100:101]
	v_mov_b32_e32 v58, v68
	v_fma_f64 v[78:79], v[80:81], v[174:175], -v[0:1]
	v_mov_b32_e32 v59, v69
	v_fma_f64 v[76:77], v[80:81], v[172:173], v[10:11]
	s_mov_b32 s14, 0x4bc48dbf
	v_fma_f64 v[168:169], v[62:63], v[100:101], v[2:3]
	s_mov_b32 s15, 0xbfcea1e5
	v_fma_f64 v[100:101], v[62:63], v[102:103], -v[4:5]
	v_mul_f64 v[4:5], v[206:207], v[94:95]
	s_mov_b32 s12, 0x93053d00
	s_mov_b32 s17, 0x3fddbe06
	;; [unrolled: 1-line block ×16, first 2 shown]
	v_add_f64 v[166:167], v[74:75], -v[70:71]
	s_mov_b32 s28, 0x66966769
	s_mov_b32 s24, 0xb2365da1
	;; [unrolled: 1-line block ×4, first 2 shown]
	v_add_f64 v[68:69], v[164:165], v[82:83]
	s_mov_b32 s4, 0xebaa3ed8
	s_mov_b32 s5, 0x3fbedb7d
	v_mul_f64 v[23:24], v[166:167], s[28:29]
	s_mov_b32 s31, 0xbfea55e2
	s_mov_b32 s30, s36
	;; [unrolled: 1-line block ×8, first 2 shown]
	s_waitcnt vmcnt(12)
	v_mul_f64 v[8:9], v[18:19], v[106:107]
	v_mul_f64 v[12:13], v[18:19], v[104:105]
	s_waitcnt vmcnt(8)
	v_mul_f64 v[14:15], v[39:40], v[138:139]
	v_mul_f64 v[6:7], v[39:40], v[136:137]
	s_waitcnt vmcnt(4)
	v_mul_f64 v[0:1], v[31:32], v[98:99]
	s_waitcnt vmcnt(0)
	v_mul_f64 v[2:3], v[43:44], v[130:131]
	v_fma_f64 v[104:105], v[16:17], v[104:105], v[8:9]
	v_fma_f64 v[106:107], v[16:17], v[106:107], -v[12:13]
	buffer_load_dword v16, off, s[52:55], 0 offset:176 ; 4-byte Folded Reload
	buffer_load_dword v17, off, s[52:55], 0 offset:180 ; 4-byte Folded Reload
	;; [unrolled: 1-line block ×8, first 2 shown]
	v_fma_f64 v[72:73], v[37:38], v[136:137], v[14:15]
	v_fma_f64 v[64:65], v[37:38], v[138:139], -v[6:7]
	buffer_load_dword v37, off, s[52:55], 0 offset:224 ; 4-byte Folded Reload
	buffer_load_dword v38, off, s[52:55], 0 offset:228 ; 4-byte Folded Reload
	;; [unrolled: 1-line block ×4, first 2 shown]
	v_fma_f64 v[66:67], v[29:30], v[96:97], v[0:1]
	v_fma_f64 v[50:51], v[41:42], v[128:129], v[2:3]
	v_mul_f64 v[8:9], v[31:32], v[96:97]
	v_fma_f64 v[96:97], v[204:205], v[92:93], v[4:5]
	v_mul_f64 v[4:5], v[206:207], v[92:93]
	v_add_f64 v[172:173], v[168:169], -v[72:73]
	v_add_f64 v[170:171], v[104:105], -v[76:77]
	v_add_f64 v[80:81], v[106:107], v[78:79]
	v_add_f64 v[102:103], v[66:67], -v[50:51]
	v_mul_f64 v[27:28], v[172:173], s[36:37]
	v_mul_f64 v[25:26], v[170:171], s[6:7]
	;; [unrolled: 1-line block ×3, first 2 shown]
	s_waitcnt vmcnt(8)
	v_mul_f64 v[0:1], v[18:19], v[90:91]
	s_waitcnt vmcnt(4)
	v_mul_f64 v[2:3], v[35:36], v[118:119]
	v_mul_f64 v[10:11], v[18:19], v[88:89]
	;; [unrolled: 1-line block ×3, first 2 shown]
	s_waitcnt vmcnt(0)
	v_mul_f64 v[6:7], v[39:40], v[58:59]
	v_mul_f64 v[14:15], v[39:40], v[56:57]
	v_fma_f64 v[0:1], v[16:17], v[88:89], v[0:1]
	v_fma_f64 v[48:49], v[33:34], v[116:117], v[2:3]
	v_fma_f64 v[2:3], v[29:30], v[98:99], -v[8:9]
	v_fma_f64 v[8:9], v[16:17], v[90:91], -v[10:11]
	v_fma_f64 v[54:55], v[37:38], v[56:57], v[6:7]
	v_fma_f64 v[52:53], v[33:34], v[118:119], -v[12:13]
	v_mul_f64 v[10:11], v[43:44], v[128:129]
	v_fma_f64 v[6:7], v[204:205], v[94:95], -v[4:5]
	v_fma_f64 v[56:57], v[37:38], v[58:59], -v[14:15]
	v_add_f64 v[20:21], v[0:1], -v[48:49]
	v_mul_f64 v[29:30], v[102:103], s[22:23]
	v_add_f64 v[92:93], v[0:1], v[48:49]
	v_add_f64 v[18:19], v[96:97], -v[54:55]
	v_add_f64 v[88:89], v[8:9], v[52:53]
	v_fma_f64 v[58:59], v[41:42], v[130:131], -v[10:11]
	v_add_f64 v[98:99], v[8:9], -v[52:53]
	v_add_f64 v[60:61], v[6:7], v[56:57]
	v_mul_f64 v[12:13], v[20:21], s[14:15]
	v_add_f64 v[94:95], v[6:7], -v[56:57]
	v_add_f64 v[90:91], v[96:97], v[54:55]
	v_mul_f64 v[14:15], v[18:19], s[16:17]
	;; [unrolled: 3-line block ×3, first 2 shown]
	v_add_f64 v[116:117], v[2:3], -v[58:59]
	v_fma_f64 v[4:5], v[88:89], s[12:13], v[12:13]
	v_mul_f64 v[35:36], v[94:95], s[16:17]
	v_fma_f64 v[45:46], v[88:89], s[12:13], -v[12:13]
	v_fma_f64 v[10:11], v[60:61], s[18:19], v[14:15]
	v_add_f64 v[130:131], v[106:107], -v[78:79]
	v_fma_f64 v[31:32], v[62:63], s[20:21], v[29:30]
	v_fma_f64 v[37:38], v[92:93], s[12:13], -v[33:34]
	v_mul_f64 v[39:40], v[116:117], s[22:23]
	v_add_f64 v[16:17], v[86:87], v[4:5]
	v_add_f64 v[4:5], v[100:101], v[64:65]
	v_fma_f64 v[41:42], v[90:91], s[18:19], -v[35:36]
	v_add_f64 v[12:13], v[168:169], v[72:73]
	v_mul_f64 v[132:133], v[128:129], s[36:37]
	v_add_f64 v[45:46], v[86:87], v[45:46]
	v_add_f64 v[37:38], v[84:85], v[37:38]
	v_fma_f64 v[33:34], v[92:93], s[12:13], v[33:34]
	v_add_f64 v[10:11], v[10:11], v[16:17]
	v_fma_f64 v[16:17], v[4:5], s[26:27], v[27:28]
	v_fma_f64 v[43:44], v[80:81], s[24:25], v[25:26]
	v_add_f64 v[118:119], v[104:105], v[76:77]
	v_mul_f64 v[136:137], v[130:131], s[6:7]
	v_fma_f64 v[138:139], v[12:13], s[26:27], -v[132:133]
	v_add_f64 v[37:38], v[41:42], v[37:38]
	v_fma_f64 v[41:42], v[60:61], s[18:19], -v[14:15]
	v_add_f64 v[31:32], v[31:32], v[10:11]
	v_add_f64 v[10:11], v[66:67], v[50:51]
	v_fma_f64 v[29:30], v[62:63], s[20:21], -v[29:30]
	v_fma_f64 v[35:36], v[90:91], s[18:19], v[35:36]
	v_add_f64 v[33:34], v[84:85], v[33:34]
	v_add_f64 v[14:15], v[74:75], v[70:71]
	v_fma_f64 v[27:28], v[4:5], s[26:27], -v[27:28]
	v_add_f64 v[41:42], v[41:42], v[45:46]
	v_add_f64 v[31:32], v[16:17], v[31:32]
	v_fma_f64 v[134:135], v[10:11], s[20:21], -v[39:40]
	v_add_f64 v[16:17], v[164:165], -v[82:83]
	v_fma_f64 v[25:26], v[80:81], s[24:25], -v[25:26]
	v_add_f64 v[33:34], v[35:36], v[33:34]
	v_fma_f64 v[182:183], v[4:5], s[12:13], v[176:177]
	v_add_f64 v[0:1], v[84:85], v[0:1]
	v_add_f64 v[29:30], v[29:30], v[41:42]
	;; [unrolled: 1-line block ×4, first 2 shown]
	v_mul_f64 v[45:46], v[16:17], s[28:29]
	v_fma_f64 v[134:135], v[118:119], s[24:25], -v[136:137]
	v_fma_f64 v[43:44], v[10:11], s[20:21], v[39:40]
	v_add_f64 v[8:9], v[86:87], v[8:9]
	v_add_f64 v[0:1], v[0:1], v[96:97]
	;; [unrolled: 1-line block ×3, first 2 shown]
	v_fma_f64 v[29:30], v[12:13], s[26:27], v[132:133]
	v_add_f64 v[37:38], v[138:139], v[37:38]
	v_fma_f64 v[138:139], v[68:69], s[4:5], v[23:24]
	v_fma_f64 v[41:42], v[14:15], s[4:5], -v[45:46]
	v_mul_f64 v[132:133], v[94:95], s[28:29]
	v_fma_f64 v[23:24], v[68:69], s[4:5], -v[23:24]
	v_add_f64 v[6:7], v[8:9], v[6:7]
	v_add_f64 v[25:26], v[25:26], v[27:28]
	v_mul_f64 v[27:28], v[98:99], s[22:23]
	v_add_f64 v[35:36], v[134:135], v[37:38]
	v_add_f64 v[38:39], v[138:139], v[31:32]
	;; [unrolled: 1-line block ×3, first 2 shown]
	v_mul_f64 v[33:34], v[20:21], s[22:23]
	v_mul_f64 v[134:135], v[102:103], s[30:31]
	;; [unrolled: 1-line block ×3, first 2 shown]
	v_fma_f64 v[174:175], v[90:91], s[4:5], -v[132:133]
	v_add_f64 v[0:1], v[0:1], v[66:67]
	v_add_f64 v[36:37], v[41:42], v[35:36]
	v_fma_f64 v[40:41], v[14:15], s[4:5], v[45:46]
	v_add_f64 v[29:30], v[29:30], v[31:32]
	v_mul_f64 v[31:32], v[18:19], s[28:29]
	v_fma_f64 v[44:45], v[88:89], s[20:21], v[33:34]
	v_fma_f64 v[42:43], v[118:119], s[24:25], v[136:137]
	v_fma_f64 v[46:47], v[92:93], s[20:21], -v[27:28]
	v_fma_f64 v[33:34], v[88:89], s[20:21], -v[33:34]
	v_fma_f64 v[178:179], v[62:63], s[26:27], v[134:135]
	v_fma_f64 v[180:181], v[10:11], s[26:27], -v[138:139]
	v_fma_f64 v[134:135], v[62:63], s[26:27], -v[134:135]
	v_fma_f64 v[136:137], v[60:61], s[4:5], v[31:32]
	v_add_f64 v[44:45], v[86:87], v[44:45]
	v_fma_f64 v[31:32], v[60:61], s[4:5], -v[31:32]
	v_add_f64 v[46:47], v[84:85], v[46:47]
	v_add_f64 v[33:34], v[86:87], v[33:34]
	;; [unrolled: 1-line block ×3, first 2 shown]
	v_fma_f64 v[42:43], v[4:5], s[12:13], -v[176:177]
	v_fma_f64 v[27:28], v[92:93], s[20:21], v[27:28]
	v_add_f64 v[2:3], v[6:7], v[2:3]
	v_add_f64 v[44:45], v[136:137], v[44:45]
	v_mul_f64 v[136:137], v[128:129], s[40:41]
	v_add_f64 v[46:47], v[174:175], v[46:47]
	v_mul_f64 v[174:175], v[170:171], s[16:17]
	v_add_f64 v[31:32], v[31:32], v[33:34]
	v_add_f64 v[0:1], v[0:1], v[168:169]
	;; [unrolled: 1-line block ×5, first 2 shown]
	v_mul_f64 v[178:179], v[130:131], s[16:17]
	v_fma_f64 v[184:185], v[12:13], s[12:13], -v[136:137]
	v_add_f64 v[46:47], v[180:181], v[46:47]
	v_mul_f64 v[180:181], v[166:167], s[6:7]
	v_fma_f64 v[33:34], v[80:81], s[18:19], v[174:175]
	v_add_f64 v[31:32], v[134:135], v[31:32]
	v_fma_f64 v[136:137], v[12:13], s[12:13], v[136:137]
	v_add_f64 v[44:45], v[182:183], v[44:45]
	v_mul_f64 v[182:183], v[16:17], s[6:7]
	v_fma_f64 v[186:187], v[118:119], s[18:19], -v[178:179]
	v_add_f64 v[46:47], v[184:185], v[46:47]
	v_fma_f64 v[134:135], v[68:69], s[24:25], v[180:181]
	v_add_f64 v[0:1], v[0:1], v[104:105]
	v_add_f64 v[100:101], v[100:101], v[106:107]
	v_mul_f64 v[106:107], v[128:129], s[6:7]
	v_add_f64 v[33:34], v[33:34], v[44:45]
	v_fma_f64 v[176:177], v[14:15], s[24:25], -v[182:183]
	v_add_f64 v[44:45], v[40:41], v[29:30]
	v_add_f64 v[184:185], v[186:187], v[46:47]
	;; [unrolled: 1-line block ×3, first 2 shown]
	v_fma_f64 v[23:24], v[80:81], s[18:19], -v[174:175]
	v_add_f64 v[25:26], v[42:43], v[31:32]
	v_fma_f64 v[29:30], v[90:91], s[4:5], v[132:133]
	v_add_f64 v[42:43], v[134:135], v[33:34]
	v_mul_f64 v[33:34], v[20:21], s[6:7]
	v_mul_f64 v[132:133], v[98:99], s[6:7]
	v_add_f64 v[40:41], v[176:177], v[184:185]
	v_mul_f64 v[174:175], v[94:95], s[38:39]
	v_fma_f64 v[31:32], v[68:69], s[24:25], -v[180:181]
	v_add_f64 v[23:24], v[23:24], v[25:26]
	v_fma_f64 v[25:26], v[10:11], s[26:27], v[138:139]
	v_add_f64 v[27:28], v[29:30], v[27:28]
	v_mul_f64 v[29:30], v[18:19], s[38:39]
	v_fma_f64 v[134:135], v[88:89], s[24:25], v[33:34]
	v_fma_f64 v[176:177], v[92:93], s[24:25], -v[132:133]
	v_fma_f64 v[138:139], v[118:119], s[18:19], v[178:179]
	v_mul_f64 v[180:181], v[116:117], s[16:17]
	v_fma_f64 v[184:185], v[90:91], s[20:21], -v[174:175]
	v_mul_f64 v[186:187], v[172:173], s[34:35]
	v_add_f64 v[25:26], v[25:26], v[27:28]
	v_mul_f64 v[27:28], v[102:103], s[16:17]
	v_fma_f64 v[178:179], v[60:61], s[20:21], v[29:30]
	v_add_f64 v[134:135], v[86:87], v[134:135]
	v_add_f64 v[176:177], v[84:85], v[176:177]
	v_fma_f64 v[190:191], v[10:11], s[18:19], -v[180:181]
	v_fma_f64 v[33:34], v[88:89], s[24:25], -v[33:34]
	;; [unrolled: 1-line block ×3, first 2 shown]
	v_add_f64 v[25:26], v[136:137], v[25:26]
	v_fma_f64 v[188:189], v[62:63], s[18:19], v[27:28]
	v_mul_f64 v[136:137], v[170:171], s[40:41]
	v_add_f64 v[134:135], v[178:179], v[134:135]
	v_mul_f64 v[178:179], v[128:129], s[34:35]
	v_add_f64 v[176:177], v[184:185], v[176:177]
	v_fma_f64 v[184:185], v[4:5], s[4:5], v[186:187]
	v_add_f64 v[33:34], v[86:87], v[33:34]
	v_fma_f64 v[182:183], v[14:15], s[24:25], v[182:183]
	v_fma_f64 v[27:28], v[62:63], s[18:19], -v[27:28]
	v_fma_f64 v[194:195], v[80:81], s[12:13], v[136:137]
	v_add_f64 v[134:135], v[188:189], v[134:135]
	v_mul_f64 v[188:189], v[130:131], s[40:41]
	v_fma_f64 v[192:193], v[12:13], s[4:5], -v[178:179]
	v_add_f64 v[176:177], v[190:191], v[176:177]
	v_mul_f64 v[190:191], v[166:167], s[36:37]
	v_add_f64 v[29:30], v[29:30], v[33:34]
	v_add_f64 v[33:34], v[138:139], v[25:26]
	;; [unrolled: 1-line block ×4, first 2 shown]
	v_mul_f64 v[184:185], v[16:17], s[36:37]
	v_fma_f64 v[196:197], v[118:119], s[12:13], -v[188:189]
	v_add_f64 v[176:177], v[192:193], v[176:177]
	v_fma_f64 v[138:139], v[68:69], s[26:27], v[190:191]
	v_fma_f64 v[31:32], v[4:5], s[4:5], -v[186:187]
	v_add_f64 v[23:24], v[182:183], v[33:34]
	v_mul_f64 v[33:34], v[20:21], s[34:35]
	v_add_f64 v[134:135], v[194:195], v[134:135]
	v_fma_f64 v[192:193], v[14:15], s[26:27], -v[184:185]
	v_add_f64 v[186:187], v[27:28], v[29:30]
	v_add_f64 v[176:177], v[196:197], v[176:177]
	v_fma_f64 v[132:133], v[92:93], s[24:25], v[132:133]
	s_mov_b32 s37, 0x3fedeba7
	s_mov_b32 s36, s6
	v_fma_f64 v[136:137], v[80:81], s[12:13], -v[136:137]
	v_add_f64 v[29:30], v[138:139], v[134:135]
	v_mul_f64 v[138:139], v[18:19], s[14:15]
	v_fma_f64 v[134:135], v[68:69], s[26:27], -v[190:191]
	v_add_f64 v[27:28], v[192:193], v[176:177]
	v_fma_f64 v[176:177], v[88:89], s[4:5], v[33:34]
	v_add_f64 v[31:32], v[31:32], v[186:187]
	v_fma_f64 v[174:175], v[90:91], s[20:21], v[174:175]
	v_add_f64 v[132:133], v[84:85], v[132:133]
	v_mul_f64 v[182:183], v[98:99], s[34:35]
	v_mul_f64 v[186:187], v[102:103], s[36:37]
	v_fma_f64 v[190:191], v[60:61], s[12:13], v[138:139]
	v_fma_f64 v[180:181], v[10:11], s[18:19], v[180:181]
	v_add_f64 v[176:177], v[86:87], v[176:177]
	v_add_f64 v[31:32], v[136:137], v[31:32]
	v_mul_f64 v[136:137], v[94:95], s[14:15]
	v_add_f64 v[132:133], v[174:175], v[132:133]
	v_fma_f64 v[174:175], v[92:93], s[4:5], -v[182:183]
	v_mul_f64 v[192:193], v[172:173], s[16:17]
	v_fma_f64 v[194:195], v[62:63], s[24:25], v[186:187]
	v_fma_f64 v[178:179], v[12:13], s[4:5], v[178:179]
	v_add_f64 v[176:177], v[190:191], v[176:177]
	v_mul_f64 v[196:197], v[170:171], s[30:31]
	v_fma_f64 v[190:191], v[90:91], s[12:13], -v[136:137]
	v_add_f64 v[132:133], v[180:181], v[132:133]
	v_add_f64 v[174:175], v[84:85], v[174:175]
	v_fma_f64 v[198:199], v[4:5], s[18:19], v[192:193]
	v_fma_f64 v[188:189], v[118:119], s[12:13], v[188:189]
	v_mul_f64 v[180:181], v[116:117], s[36:37]
	v_add_f64 v[176:177], v[194:195], v[176:177]
	v_fma_f64 v[200:201], v[80:81], s[26:27], v[196:197]
	v_fma_f64 v[33:34], v[88:89], s[4:5], -v[33:34]
	v_add_f64 v[132:133], v[178:179], v[132:133]
	v_add_f64 v[174:175], v[190:191], v[174:175]
	v_mul_f64 v[190:191], v[166:167], s[22:23]
	v_mul_f64 v[178:179], v[128:129], s[16:17]
	v_fma_f64 v[194:195], v[10:11], s[24:25], -v[180:181]
	v_add_f64 v[176:177], v[198:199], v[176:177]
	v_fma_f64 v[184:185], v[14:15], s[26:27], v[184:185]
	v_fma_f64 v[138:139], v[60:61], s[12:13], -v[138:139]
	v_add_f64 v[132:133], v[188:189], v[132:133]
	v_mul_f64 v[198:199], v[130:131], s[30:31]
	v_fma_f64 v[188:189], v[68:69], s[20:21], v[190:191]
	v_fma_f64 v[202:203], v[12:13], s[18:19], -v[178:179]
	v_add_f64 v[174:175], v[194:195], v[174:175]
	v_add_f64 v[176:177], v[200:201], v[176:177]
	v_add_f64 v[200:201], v[86:87], v[33:34]
	v_add_f64 v[33:34], v[134:135], v[31:32]
	v_add_f64 v[31:32], v[184:185], v[132:133]
	v_fma_f64 v[132:133], v[62:63], s[24:25], -v[186:187]
	v_fma_f64 v[186:187], v[68:69], s[20:21], -v[190:191]
	v_fma_f64 v[182:183], v[92:93], s[4:5], v[182:183]
	v_mul_f64 v[190:191], v[18:19], s[6:7]
	v_add_f64 v[134:135], v[188:189], v[176:177]
	v_mul_f64 v[176:177], v[20:21], s[30:31]
	v_add_f64 v[138:139], v[138:139], v[200:201]
	v_fma_f64 v[188:189], v[4:5], s[18:19], -v[192:193]
	v_fma_f64 v[204:205], v[118:119], s[26:27], -v[198:199]
	v_add_f64 v[174:175], v[202:203], v[174:175]
	v_fma_f64 v[136:137], v[90:91], s[12:13], v[136:137]
	v_add_f64 v[182:183], v[84:85], v[182:183]
	v_mul_f64 v[200:201], v[102:103], s[14:15]
	v_fma_f64 v[192:193], v[88:89], s[26:27], v[176:177]
	v_add_f64 v[132:133], v[132:133], v[138:139]
	v_fma_f64 v[138:139], v[80:81], s[26:27], -v[196:197]
	v_mul_f64 v[196:197], v[98:99], s[30:31]
	v_fma_f64 v[202:203], v[60:61], s[24:25], v[190:191]
	v_add_f64 v[174:175], v[204:205], v[174:175]
	v_fma_f64 v[180:181], v[10:11], s[24:25], v[180:181]
	v_add_f64 v[136:137], v[136:137], v[182:183]
	v_add_f64 v[192:193], v[86:87], v[192:193]
	;; [unrolled: 1-line block ×3, first 2 shown]
	v_mul_f64 v[188:189], v[94:95], s[6:7]
	v_fma_f64 v[204:205], v[92:93], s[26:27], -v[196:197]
	v_mul_f64 v[182:183], v[172:173], s[38:39]
	v_fma_f64 v[206:207], v[62:63], s[12:13], v[200:201]
	v_fma_f64 v[178:179], v[12:13], s[18:19], v[178:179]
	v_add_f64 v[136:137], v[180:181], v[136:137]
	v_add_f64 v[192:193], v[202:203], v[192:193]
	v_mul_f64 v[202:203], v[116:117], s[14:15]
	v_fma_f64 v[209:210], v[90:91], s[24:25], -v[188:189]
	v_add_f64 v[204:205], v[84:85], v[204:205]
	v_mul_f64 v[180:181], v[170:171], s[28:29]
	v_fma_f64 v[211:212], v[4:5], s[20:21], v[182:183]
	v_mul_f64 v[194:195], v[16:17], s[22:23]
	v_fma_f64 v[198:199], v[118:119], s[26:27], v[198:199]
	v_add_f64 v[192:193], v[206:207], v[192:193]
	v_mul_f64 v[206:207], v[128:129], s[38:39]
	v_fma_f64 v[213:214], v[10:11], s[12:13], -v[202:203]
	v_add_f64 v[204:205], v[209:210], v[204:205]
	v_add_f64 v[136:137], v[178:179], v[136:137]
	v_mul_f64 v[178:179], v[166:167], s[16:17]
	v_fma_f64 v[209:210], v[80:81], s[4:5], v[180:181]
	v_fma_f64 v[184:185], v[14:15], s[20:21], -v[194:195]
	v_add_f64 v[192:193], v[211:212], v[192:193]
	v_add_f64 v[138:139], v[138:139], v[132:133]
	v_fma_f64 v[132:133], v[12:13], s[20:21], -v[206:207]
	v_add_f64 v[204:205], v[213:214], v[204:205]
	v_add_f64 v[136:137], v[198:199], v[136:137]
	v_fma_f64 v[198:199], v[68:69], s[18:19], v[178:179]
	v_fma_f64 v[176:177], v[88:89], s[26:27], -v[176:177]
	v_fma_f64 v[194:195], v[14:15], s[20:21], v[194:195]
	v_add_f64 v[192:193], v[209:210], v[192:193]
	v_mul_f64 v[209:210], v[16:17], s[16:17]
	s_mov_b32 s17, 0xbfddbe06
	v_add_f64 v[204:205], v[132:133], v[204:205]
	v_add_f64 v[132:133], v[184:185], v[174:175]
	;; [unrolled: 1-line block ×3, first 2 shown]
	v_fma_f64 v[186:187], v[60:61], s[24:25], -v[190:191]
	v_add_f64 v[176:177], v[86:87], v[176:177]
	v_add_f64 v[174:175], v[198:199], v[192:193]
	v_fma_f64 v[192:193], v[92:93], s[26:27], v[196:197]
	v_mul_f64 v[20:21], v[20:21], s[16:17]
	v_mul_f64 v[98:99], v[98:99], s[16:17]
	v_add_f64 v[136:137], v[194:195], v[136:137]
	v_fma_f64 v[194:195], v[62:63], s[12:13], -v[200:201]
	v_mul_f64 v[18:19], v[18:19], s[30:31]
	v_add_f64 v[176:177], v[186:187], v[176:177]
	v_fma_f64 v[186:187], v[90:91], s[24:25], v[188:189]
	v_add_f64 v[188:189], v[84:85], v[192:193]
	v_fma_f64 v[192:193], v[88:89], s[18:19], v[20:21]
	v_fma_f64 v[20:21], v[88:89], s[18:19], -v[20:21]
	v_mul_f64 v[88:89], v[94:95], s[30:31]
	v_add_f64 v[0:1], v[0:1], v[74:75]
	v_fma_f64 v[74:75], v[92:93], s[18:19], v[98:99]
	v_fma_f64 v[92:93], v[92:93], s[18:19], -v[98:99]
	v_fma_f64 v[182:183], v[4:5], s[20:21], -v[182:183]
	v_add_f64 v[176:177], v[194:195], v[176:177]
	v_fma_f64 v[194:195], v[10:11], s[12:13], v[202:203]
	v_add_f64 v[186:187], v[186:187], v[188:189]
	v_mul_f64 v[102:103], v[102:103], s[34:35]
	v_fma_f64 v[188:189], v[60:61], s[26:27], v[18:19]
	v_add_f64 v[94:95], v[100:101], v[164:165]
	v_mul_f64 v[100:101], v[116:117], s[34:35]
	v_fma_f64 v[18:19], v[60:61], s[26:27], -v[18:19]
	v_add_f64 v[20:21], v[86:87], v[20:21]
	v_fma_f64 v[60:61], v[90:91], s[26:27], v[88:89]
	v_add_f64 v[0:1], v[0:1], v[70:71]
	v_add_f64 v[70:71], v[84:85], v[74:75]
	v_fma_f64 v[74:75], v[90:91], s[26:27], -v[88:89]
	v_add_f64 v[84:85], v[84:85], v[92:93]
	v_fma_f64 v[180:181], v[80:81], s[4:5], -v[180:181]
	v_add_f64 v[8:9], v[182:183], v[176:177]
	v_fma_f64 v[96:97], v[12:13], s[20:21], v[206:207]
	v_add_f64 v[176:177], v[194:195], v[186:187]
	v_mul_f64 v[172:173], v[172:173], s[6:7]
	v_fma_f64 v[182:183], v[62:63], s[4:5], v[102:103]
	v_fma_f64 v[62:63], v[62:63], s[4:5], -v[102:103]
	v_add_f64 v[18:19], v[18:19], v[20:21]
	v_fma_f64 v[20:21], v[10:11], s[4:5], v[100:101]
	v_add_f64 v[0:1], v[0:1], v[76:77]
	v_add_f64 v[60:61], v[60:61], v[70:71]
	v_fma_f64 v[10:11], v[10:11], s[4:5], -v[100:101]
	v_add_f64 v[70:71], v[74:75], v[84:85]
	v_fma_f64 v[178:179], v[68:69], s[18:19], -v[178:179]
	v_add_f64 v[6:7], v[180:181], v[8:9]
	v_add_f64 v[66:67], v[96:97], v[176:177]
	v_mul_f64 v[96:97], v[170:171], s[22:23]
	v_fma_f64 v[170:171], v[4:5], s[24:25], v[172:173]
	v_mul_f64 v[104:105], v[130:131], s[22:23]
	v_fma_f64 v[4:5], v[4:5], s[24:25], -v[172:173]
	v_add_f64 v[18:19], v[62:63], v[18:19]
	v_fma_f64 v[62:63], v[12:13], s[24:25], v[106:107]
	v_add_f64 v[0:1], v[0:1], v[72:73]
	v_fma_f64 v[12:13], v[12:13], s[24:25], -v[106:107]
	v_add_f64 v[10:11], v[10:11], v[70:71]
	v_add_f64 v[2:3], v[178:179], v[6:7]
	v_mul_f64 v[6:7], v[166:167], s[14:15]
	v_mul_f64 v[16:17], v[16:17], s[14:15]
	v_add_f64 v[20:21], v[20:21], v[60:61]
	v_fma_f64 v[60:61], v[80:81], s[20:21], -v[96:97]
	v_add_f64 v[4:5], v[4:5], v[18:19]
	v_add_f64 v[0:1], v[0:1], v[50:51]
	v_fma_f64 v[50:51], v[118:119], s[20:21], -v[104:105]
	v_add_f64 v[10:11], v[12:13], v[10:11]
	v_fma_f64 v[18:19], v[118:119], s[20:21], v[104:105]
	v_fma_f64 v[12:13], v[68:69], s[12:13], -v[6:7]
	v_add_f64 v[20:21], v[62:63], v[20:21]
	v_add_f64 v[82:83], v[94:95], v[82:83]
	;; [unrolled: 1-line block ×3, first 2 shown]
	v_fma_f64 v[60:61], v[14:15], s[12:13], v[16:17]
	v_fma_f64 v[16:17], v[14:15], s[12:13], -v[16:17]
	v_add_f64 v[50:51], v[50:51], v[10:11]
	v_add_f64 v[192:193], v[86:87], v[192:193]
	v_mul_f64 v[211:212], v[130:131], s[28:29]
	v_add_f64 v[18:19], v[18:19], v[20:21]
	v_fma_f64 v[20:21], v[68:69], s[12:13], v[6:7]
	v_add_f64 v[6:7], v[12:13], v[4:5]
	v_add_f64 v[78:79], v[82:83], v[78:79]
	;; [unrolled: 1-line block ×4, first 2 shown]
	buffer_load_dword v16, off, s[52:55], 0 offset:152 ; 4-byte Folded Reload
	buffer_load_dword v17, off, s[52:55], 0 offset:156 ; 4-byte Folded Reload
	v_add_f64 v[186:187], v[188:189], v[192:193]
	v_fma_f64 v[8:9], v[118:119], s[4:5], v[211:212]
	v_fma_f64 v[213:214], v[118:119], s[4:5], -v[211:212]
	v_add_f64 v[64:65], v[78:79], v[64:65]
	v_fma_f64 v[168:169], v[14:15], s[18:19], v[209:210]
	v_fma_f64 v[184:185], v[14:15], s[18:19], -v[209:210]
	v_add_f64 v[4:5], v[60:61], v[18:19]
	v_add_f64 v[176:177], v[182:183], v[186:187]
	;; [unrolled: 1-line block ×3, first 2 shown]
	v_fma_f64 v[8:9], v[80:81], s[20:21], v[96:97]
	v_add_f64 v[58:59], v[64:65], v[58:59]
	v_add_f64 v[190:191], v[213:214], v[204:205]
	;; [unrolled: 1-line block ×10, first 2 shown]
	s_waitcnt vmcnt(1)
	v_mul_u32_u24_e32 v16, 0x75, v16
	s_waitcnt vmcnt(0)
	v_add_lshl_u32 v16, v16, v17, 4
	ds_write_b128 v16, v[8:11]
	ds_write_b128 v16, v[4:7] offset:144
	ds_write_b128 v16, v[0:3] offset:288
	;; [unrolled: 1-line block ×12, first 2 shown]
.LBB0_9:
	s_or_b64 exec, exec, s[0:1]
	s_waitcnt lgkmcnt(0)
	s_barrier
	ds_read_b128 v[0:3], v255 offset:5616
	ds_read_b128 v[4:7], v255
	ds_read_b128 v[8:11], v255 offset:1872
	ds_read_b128 v[12:15], v255 offset:11232
	;; [unrolled: 1-line block ×4, first 2 shown]
	s_waitcnt lgkmcnt(5)
	v_mul_f64 v[20:21], v[114:115], v[2:3]
	ds_read_b128 v[27:30], v255 offset:7488
	ds_read_b128 v[31:34], v255 offset:9360
	s_waitcnt lgkmcnt(4)
	v_mul_f64 v[41:42], v[110:111], v[14:15]
	v_mul_f64 v[39:40], v[114:115], v[0:1]
	;; [unrolled: 1-line block ×3, first 2 shown]
	s_waitcnt lgkmcnt(1)
	v_mul_f64 v[45:46], v[114:115], v[29:30]
	v_mul_f64 v[47:48], v[114:115], v[27:28]
	v_fma_f64 v[20:21], v[112:113], v[0:1], v[20:21]
	v_mul_f64 v[0:1], v[110:111], v[18:19]
	ds_read_b128 v[35:38], v255 offset:14976
	v_fma_f64 v[12:13], v[108:109], v[12:13], v[41:42]
	v_fma_f64 v[2:3], v[112:113], v[2:3], -v[39:40]
	v_fma_f64 v[14:15], v[108:109], v[14:15], -v[43:44]
	v_mul_f64 v[39:40], v[110:111], v[16:17]
	v_fma_f64 v[41:42], v[112:113], v[27:28], v[45:46]
	s_waitcnt lgkmcnt(1)
	v_mul_f64 v[27:28], v[126:127], v[33:34]
	v_mul_f64 v[43:44], v[126:127], v[31:32]
	v_fma_f64 v[29:30], v[112:113], v[29:30], -v[47:48]
	v_add_f64 v[45:46], v[20:21], v[12:13]
	v_fma_f64 v[47:48], v[108:109], v[16:17], v[0:1]
	s_waitcnt lgkmcnt(0)
	v_mul_f64 v[0:1], v[122:123], v[37:38]
	v_fma_f64 v[18:19], v[108:109], v[18:19], -v[39:40]
	v_mul_f64 v[16:17], v[122:123], v[35:36]
	v_add_f64 v[39:40], v[4:5], v[20:21]
	v_fma_f64 v[31:32], v[124:125], v[31:32], v[27:28]
	v_fma_f64 v[33:34], v[124:125], v[33:34], -v[43:44]
	v_fma_f64 v[27:28], v[45:46], -0.5, v[4:5]
	v_add_f64 v[45:46], v[2:3], v[14:15]
	v_add_f64 v[43:44], v[2:3], -v[14:15]
	v_fma_f64 v[35:36], v[120:121], v[35:36], v[0:1]
	v_fma_f64 v[37:38], v[120:121], v[37:38], -v[16:17]
	v_add_f64 v[0:1], v[39:40], v[12:13]
	v_add_f64 v[16:17], v[41:42], v[47:48]
	;; [unrolled: 1-line block ×3, first 2 shown]
	v_add_f64 v[20:21], v[20:21], -v[12:13]
	v_fma_f64 v[39:40], v[45:46], -0.5, v[6:7]
	s_mov_b32 s0, 0xe8584caa
	s_mov_b32 s1, 0xbfebb67a
	;; [unrolled: 1-line block ×4, first 2 shown]
	v_fma_f64 v[4:5], v[43:44], s[0:1], v[27:28]
	v_fma_f64 v[12:13], v[43:44], s[4:5], v[27:28]
	v_add_f64 v[43:44], v[29:30], v[18:19]
	v_add_f64 v[45:46], v[8:9], v[41:42]
	v_fma_f64 v[49:50], v[16:17], -0.5, v[8:9]
	v_add_f64 v[51:52], v[29:30], -v[18:19]
	v_add_f64 v[2:3], v[2:3], v[14:15]
	v_fma_f64 v[6:7], v[20:21], s[4:5], v[39:40]
	v_fma_f64 v[14:15], v[20:21], s[0:1], v[39:40]
	v_add_f64 v[20:21], v[31:32], v[35:36]
	v_add_f64 v[39:40], v[33:34], v[37:38]
	;; [unrolled: 1-line block ×3, first 2 shown]
	v_fma_f64 v[43:44], v[43:44], -0.5, v[10:11]
	v_add_f64 v[41:42], v[41:42], -v[47:48]
	v_add_f64 v[8:9], v[45:46], v[47:48]
	v_add_f64 v[45:46], v[23:24], v[31:32]
	v_add_f64 v[47:48], v[33:34], -v[37:38]
	v_add_f64 v[33:34], v[25:26], v[33:34]
	v_fma_f64 v[16:17], v[51:52], s[0:1], v[49:50]
	v_fma_f64 v[27:28], v[51:52], s[4:5], v[49:50]
	v_fma_f64 v[20:21], v[20:21], -0.5, v[23:24]
	v_fma_f64 v[39:40], v[39:40], -0.5, v[25:26]
	v_add_f64 v[49:50], v[31:32], -v[35:36]
	v_add_f64 v[10:11], v[29:30], v[18:19]
	v_fma_f64 v[18:19], v[41:42], s[4:5], v[43:44]
	v_fma_f64 v[29:30], v[41:42], s[0:1], v[43:44]
	v_add_f64 v[23:24], v[45:46], v[35:36]
	v_add_f64 v[25:26], v[33:34], v[37:38]
	v_fma_f64 v[31:32], v[47:48], s[0:1], v[20:21]
	v_fma_f64 v[35:36], v[47:48], s[4:5], v[20:21]
	;; [unrolled: 1-line block ×4, first 2 shown]
	s_barrier
	ds_write_b128 v255, v[0:3]
	ds_write_b128 v255, v[4:7] offset:1872
	ds_write_b128 v255, v[12:15] offset:3744
	;; [unrolled: 1-line block ×8, first 2 shown]
	s_waitcnt lgkmcnt(0)
	s_barrier
	ds_read_b128 v[0:3], v255 offset:5616
	ds_read_b128 v[4:7], v255
	ds_read_b128 v[8:11], v255 offset:1872
	ds_read_b128 v[12:15], v255 offset:3744
	;; [unrolled: 1-line block ×4, first 2 shown]
	s_waitcnt lgkmcnt(5)
	v_mul_f64 v[36:37], v[146:147], v[2:3]
	v_mul_f64 v[38:39], v[146:147], v[0:1]
	ds_read_b128 v[24:27], v255 offset:7488
	ds_read_b128 v[28:31], v255 offset:9360
	s_waitcnt lgkmcnt(3)
	v_mul_f64 v[40:41], v[142:143], v[18:19]
	v_mul_f64 v[42:43], v[142:143], v[16:17]
	s_waitcnt lgkmcnt(2)
	v_mul_f64 v[44:45], v[150:151], v[22:23]
	ds_read_b128 v[32:35], v255 offset:14976
	v_fma_f64 v[0:1], v[144:145], v[0:1], v[36:37]
	s_waitcnt lgkmcnt(2)
	v_mul_f64 v[36:37], v[154:155], v[26:27]
	v_fma_f64 v[2:3], v[144:145], v[2:3], -v[38:39]
	v_mul_f64 v[38:39], v[154:155], v[24:25]
	v_fma_f64 v[16:17], v[140:141], v[16:17], v[40:41]
	v_mul_f64 v[40:41], v[150:151], v[20:21]
	v_fma_f64 v[18:19], v[140:141], v[18:19], -v[42:43]
	s_waitcnt lgkmcnt(1)
	v_mul_f64 v[42:43], v[162:163], v[30:31]
	v_fma_f64 v[36:37], v[152:153], v[24:25], v[36:37]
	v_mul_f64 v[24:25], v[162:163], v[28:29]
	v_fma_f64 v[26:27], v[152:153], v[26:27], -v[38:39]
	v_fma_f64 v[38:39], v[148:149], v[20:21], v[44:45]
	v_fma_f64 v[22:23], v[148:149], v[22:23], -v[40:41]
	s_waitcnt lgkmcnt(0)
	v_mul_f64 v[40:41], v[158:159], v[34:35]
	v_add_f64 v[20:21], v[0:1], v[16:17]
	v_fma_f64 v[28:29], v[160:161], v[28:29], v[42:43]
	v_mul_f64 v[42:43], v[158:159], v[32:33]
	v_fma_f64 v[30:31], v[160:161], v[30:31], -v[24:25]
	v_add_f64 v[24:25], v[2:3], v[18:19]
	v_add_f64 v[44:45], v[4:5], v[0:1]
	v_add_f64 v[46:47], v[2:3], -v[18:19]
	v_fma_f64 v[32:33], v[156:157], v[32:33], v[40:41]
	v_add_f64 v[40:41], v[36:37], v[38:39]
	v_fma_f64 v[20:21], v[20:21], -0.5, v[4:5]
	v_fma_f64 v[34:35], v[156:157], v[34:35], -v[42:43]
	v_add_f64 v[2:3], v[6:7], v[2:3]
	v_fma_f64 v[24:25], v[24:25], -0.5, v[6:7]
	v_add_f64 v[42:43], v[0:1], -v[16:17]
	v_add_f64 v[48:49], v[26:27], -v[22:23]
	v_add_f64 v[0:1], v[44:45], v[16:17]
	v_fma_f64 v[40:41], v[40:41], -0.5, v[8:9]
	v_fma_f64 v[4:5], v[46:47], s[0:1], v[20:21]
	v_add_f64 v[44:45], v[8:9], v[36:37]
	v_fma_f64 v[16:17], v[46:47], s[4:5], v[20:21]
	v_add_f64 v[46:47], v[26:27], v[22:23]
	v_add_f64 v[2:3], v[2:3], v[18:19]
	v_fma_f64 v[6:7], v[42:43], s[4:5], v[24:25]
	v_fma_f64 v[18:19], v[42:43], s[0:1], v[24:25]
	v_add_f64 v[42:43], v[28:29], v[32:33]
	v_fma_f64 v[20:21], v[48:49], s[0:1], v[40:41]
	v_fma_f64 v[24:25], v[48:49], s[4:5], v[40:41]
	v_add_f64 v[40:41], v[30:31], v[34:35]
	v_add_f64 v[26:27], v[10:11], v[26:27]
	;; [unrolled: 1-line block ×3, first 2 shown]
	v_fma_f64 v[44:45], v[46:47], -0.5, v[10:11]
	v_add_f64 v[36:37], v[36:37], -v[38:39]
	v_add_f64 v[38:39], v[12:13], v[28:29]
	v_add_f64 v[46:47], v[30:31], -v[34:35]
	v_add_f64 v[30:31], v[14:15], v[30:31]
	v_fma_f64 v[42:43], v[42:43], -0.5, v[12:13]
	v_fma_f64 v[40:41], v[40:41], -0.5, v[14:15]
	v_add_f64 v[48:49], v[28:29], -v[32:33]
	v_add_f64 v[10:11], v[26:27], v[22:23]
	v_fma_f64 v[22:23], v[36:37], s[4:5], v[44:45]
	v_fma_f64 v[26:27], v[36:37], s[0:1], v[44:45]
	v_add_f64 v[12:13], v[38:39], v[32:33]
	v_add_f64 v[14:15], v[30:31], v[34:35]
	v_fma_f64 v[28:29], v[46:47], s[0:1], v[42:43]
	v_fma_f64 v[32:33], v[46:47], s[4:5], v[42:43]
	;; [unrolled: 1-line block ×4, first 2 shown]
	ds_write_b128 v255, v[0:3]
	ds_write_b128 v255, v[4:7] offset:5616
	ds_write_b128 v255, v[16:19] offset:11232
	;; [unrolled: 1-line block ×8, first 2 shown]
	s_waitcnt lgkmcnt(0)
	s_barrier
	ds_read_b128 v[0:3], v255
	buffer_load_dword v4, off, s[52:55], 0  ; 4-byte Folded Reload
	buffer_load_dword v5, off, s[52:55], 0 offset:4 ; 4-byte Folded Reload
	v_mov_b32_e32 v24, s3
	s_mul_hi_u32 s3, s8, 0x15f0
	s_waitcnt vmcnt(1)
	v_mov_b32_e32 v14, v4
	s_waitcnt vmcnt(0)
	ds_read_b128 v[4:7], v255 offset:1872
	buffer_load_dword v15, off, s[52:55], 0 offset:136 ; 4-byte Folded Reload
	buffer_load_dword v16, off, s[52:55], 0 offset:140 ; 4-byte Folded Reload
	;; [unrolled: 1-line block ×4, first 2 shown]
	v_mad_u64_u32 v[12:13], s[0:1], s10, v14, 0
	v_mad_u64_u32 v[13:14], s[0:1], s11, v14, v[13:14]
	s_waitcnt vmcnt(0) lgkmcnt(1)
	v_mul_f64 v[8:9], v[17:18], v[2:3]
	v_mul_f64 v[10:11], v[17:18], v[0:1]
	v_lshlrev_b64 v[18:19], 4, v[12:13]
	v_add_co_u32_e32 v25, vcc, s2, v18
	v_addc_co_u32_e32 v24, vcc, v24, v19, vcc
	v_fma_f64 v[0:1], v[15:16], v[0:1], v[8:9]
	v_fma_f64 v[2:3], v[15:16], v[2:3], -v[10:11]
	v_mad_u64_u32 v[16:17], s[0:1], s8, v208, 0
	s_mov_b32 s0, 0xad57473c
	s_mov_b32 s1, 0x3f4f1e63
	v_mov_b32_e32 v8, v17
	v_mad_u64_u32 v[14:15], s[4:5], s9, v208, v[8:9]
	ds_read_b128 v[8:11], v255 offset:5616
	v_mul_f64 v[0:1], v[0:1], s[0:1]
	v_mov_b32_e32 v17, v14
	ds_read_b128 v[12:15], v255 offset:3744
	buffer_load_dword v26, off, s[52:55], 0 offset:104 ; 4-byte Folded Reload
	buffer_load_dword v27, off, s[52:55], 0 offset:108 ; 4-byte Folded Reload
	;; [unrolled: 1-line block ×4, first 2 shown]
	v_mul_f64 v[2:3], v[2:3], s[0:1]
	v_lshlrev_b64 v[16:17], 4, v[16:17]
	s_mul_i32 s2, s9, 0x15f0
	s_add_i32 s4, s3, s2
	s_mul_i32 s5, s8, 0x15f0
	s_waitcnt vmcnt(0) lgkmcnt(1)
	v_mul_f64 v[20:21], v[28:29], v[10:11]
	v_mul_f64 v[22:23], v[28:29], v[8:9]
	v_mov_b32_e32 v28, s4
	v_fma_f64 v[18:19], v[26:27], v[8:9], v[20:21]
	v_fma_f64 v[20:21], v[26:27], v[10:11], -v[22:23]
	v_add_co_u32_e32 v22, vcc, v25, v16
	v_addc_co_u32_e32 v23, vcc, v24, v17, vcc
	global_store_dwordx4 v[22:23], v[0:3], off
	ds_read_b128 v[8:11], v255 offset:11232
	v_mul_f64 v[0:1], v[18:19], s[0:1]
	ds_read_b128 v[16:19], v255 offset:13104
	buffer_load_dword v29, off, s[52:55], 0 offset:8 ; 4-byte Folded Reload
	buffer_load_dword v30, off, s[52:55], 0 offset:12 ; 4-byte Folded Reload
	;; [unrolled: 1-line block ×4, first 2 shown]
	v_mul_f64 v[2:3], v[20:21], s[0:1]
	v_add_co_u32_e32 v22, vcc, s5, v22
	v_addc_co_u32_e32 v23, vcc, v23, v28, vcc
	s_waitcnt vmcnt(0) lgkmcnt(1)
	v_mul_f64 v[24:25], v[31:32], v[10:11]
	v_mul_f64 v[26:27], v[31:32], v[8:9]
	v_fma_f64 v[8:9], v[29:30], v[8:9], v[24:25]
	v_fma_f64 v[10:11], v[29:30], v[10:11], -v[26:27]
	buffer_load_dword v29, off, s[52:55], 0 offset:40 ; 4-byte Folded Reload
	buffer_load_dword v30, off, s[52:55], 0 offset:44 ; 4-byte Folded Reload
	;; [unrolled: 1-line block ×4, first 2 shown]
	s_waitcnt vmcnt(0)
	v_mul_f64 v[20:21], v[31:32], v[6:7]
	v_mul_f64 v[24:25], v[31:32], v[4:5]
	global_store_dwordx4 v[22:23], v[0:3], off
	v_add_co_u32_e32 v22, vcc, s5, v22
	v_mul_f64 v[0:1], v[8:9], s[0:1]
	v_mov_b32_e32 v8, s4
	v_mul_f64 v[2:3], v[10:11], s[0:1]
	v_fma_f64 v[20:21], v[29:30], v[4:5], v[20:21]
	v_fma_f64 v[24:25], v[29:30], v[6:7], -v[24:25]
	ds_read_b128 v[4:7], v255 offset:7488
	v_addc_co_u32_e32 v23, vcc, v23, v8, vcc
	ds_read_b128 v[8:11], v255 offset:9360
	buffer_load_dword v31, off, s[52:55], 0 offset:24 ; 4-byte Folded Reload
	buffer_load_dword v32, off, s[52:55], 0 offset:28 ; 4-byte Folded Reload
	;; [unrolled: 1-line block ×4, first 2 shown]
	v_mov_b32_e32 v30, 0xffffdb70
	global_store_dwordx4 v[22:23], v[0:3], off
	s_waitcnt vmcnt(1) lgkmcnt(1)
	v_mul_f64 v[26:27], v[33:34], v[6:7]
	v_mul_f64 v[28:29], v[33:34], v[4:5]
	;; [unrolled: 1-line block ×4, first 2 shown]
	v_mad_u64_u32 v[20:21], s[2:3], s8, v30, v[22:23]
	s_mul_i32 s2, s9, 0xffffdb70
	s_sub_i32 s6, s2, s8
	v_fma_f64 v[4:5], v[31:32], v[4:5], v[26:27]
	v_fma_f64 v[6:7], v[31:32], v[6:7], -v[28:29]
	buffer_load_dword v31, off, s[52:55], 0 offset:88 ; 4-byte Folded Reload
	buffer_load_dword v32, off, s[52:55], 0 offset:92 ; 4-byte Folded Reload
	;; [unrolled: 1-line block ×4, first 2 shown]
	v_add_u32_e32 v21, s6, v21
	global_store_dwordx4 v[20:21], v[0:3], off
	v_mov_b32_e32 v26, s4
	v_add_co_u32_e32 v20, vcc, s5, v20
	v_mul_f64 v[0:1], v[4:5], s[0:1]
	v_mul_f64 v[2:3], v[6:7], s[0:1]
	v_addc_co_u32_e32 v21, vcc, v21, v26, vcc
	s_waitcnt vmcnt(1)
	v_mul_f64 v[22:23], v[33:34], v[18:19]
	v_mul_f64 v[24:25], v[33:34], v[16:17]
	v_fma_f64 v[4:5], v[31:32], v[16:17], v[22:23]
	v_fma_f64 v[6:7], v[31:32], v[18:19], -v[24:25]
	buffer_load_dword v31, off, s[52:55], 0 offset:72 ; 4-byte Folded Reload
	buffer_load_dword v32, off, s[52:55], 0 offset:76 ; 4-byte Folded Reload
	;; [unrolled: 1-line block ×4, first 2 shown]
	v_mov_b32_e32 v22, s4
	global_store_dwordx4 v[20:21], v[0:3], off
	buffer_load_dword v26, off, s[52:55], 0 offset:56 ; 4-byte Folded Reload
	buffer_load_dword v27, off, s[52:55], 0 offset:60 ; 4-byte Folded Reload
	;; [unrolled: 1-line block ×4, first 2 shown]
	v_add_co_u32_e32 v20, vcc, s5, v20
	v_mul_f64 v[0:1], v[4:5], s[0:1]
	v_mul_f64 v[2:3], v[6:7], s[0:1]
	ds_read_b128 v[4:7], v255 offset:14976
	v_addc_co_u32_e32 v21, vcc, v21, v22, vcc
	s_waitcnt vmcnt(5)
	v_mul_f64 v[16:17], v[33:34], v[14:15]
	v_mul_f64 v[18:19], v[33:34], v[12:13]
	v_fma_f64 v[12:13], v[31:32], v[12:13], v[16:17]
	v_fma_f64 v[14:15], v[31:32], v[14:15], -v[18:19]
	buffer_load_dword v31, off, s[52:55], 0 offset:120 ; 4-byte Folded Reload
	buffer_load_dword v32, off, s[52:55], 0 offset:124 ; 4-byte Folded Reload
	;; [unrolled: 1-line block ×4, first 2 shown]
	s_waitcnt vmcnt(4) lgkmcnt(1)
	v_mul_f64 v[16:17], v[28:29], v[10:11]
	v_mul_f64 v[18:19], v[28:29], v[8:9]
	global_store_dwordx4 v[20:21], v[0:3], off
	v_mul_f64 v[12:13], v[12:13], s[0:1]
	v_mul_f64 v[14:15], v[14:15], s[0:1]
	v_fma_f64 v[8:9], v[26:27], v[8:9], v[16:17]
	v_fma_f64 v[10:11], v[26:27], v[10:11], -v[18:19]
	v_mad_u64_u32 v[16:17], s[2:3], s8, v30, v[20:21]
	v_add_u32_e32 v17, s6, v17
	global_store_dwordx4 v[16:17], v[12:15], off
	v_mul_f64 v[0:1], v[8:9], s[0:1]
	v_mul_f64 v[2:3], v[10:11], s[0:1]
	v_mov_b32_e32 v9, s4
	v_add_co_u32_e32 v8, vcc, s5, v16
	v_addc_co_u32_e32 v9, vcc, v17, v9, vcc
	global_store_dwordx4 v[8:9], v[0:3], off
	s_nop 0
	v_mov_b32_e32 v1, s4
	v_add_co_u32_e32 v0, vcc, s5, v8
	v_addc_co_u32_e32 v1, vcc, v9, v1, vcc
	s_waitcnt vmcnt(3) lgkmcnt(0)
	v_mul_f64 v[22:23], v[33:34], v[6:7]
	v_mul_f64 v[24:25], v[33:34], v[4:5]
	v_fma_f64 v[4:5], v[31:32], v[4:5], v[22:23]
	v_fma_f64 v[6:7], v[31:32], v[6:7], -v[24:25]
	v_mul_f64 v[4:5], v[4:5], s[0:1]
	v_mul_f64 v[6:7], v[6:7], s[0:1]
	global_store_dwordx4 v[0:1], v[4:7], off
.LBB0_10:
	s_endpgm
	.section	.rodata,"a",@progbits
	.p2align	6, 0x0
	.amdhsa_kernel bluestein_single_back_len1053_dim1_dp_op_CI_CI
		.amdhsa_group_segment_fixed_size 16848
		.amdhsa_private_segment_fixed_size 460
		.amdhsa_kernarg_size 104
		.amdhsa_user_sgpr_count 6
		.amdhsa_user_sgpr_private_segment_buffer 1
		.amdhsa_user_sgpr_dispatch_ptr 0
		.amdhsa_user_sgpr_queue_ptr 0
		.amdhsa_user_sgpr_kernarg_segment_ptr 1
		.amdhsa_user_sgpr_dispatch_id 0
		.amdhsa_user_sgpr_flat_scratch_init 0
		.amdhsa_user_sgpr_private_segment_size 0
		.amdhsa_uses_dynamic_stack 0
		.amdhsa_system_sgpr_private_segment_wavefront_offset 1
		.amdhsa_system_sgpr_workgroup_id_x 1
		.amdhsa_system_sgpr_workgroup_id_y 0
		.amdhsa_system_sgpr_workgroup_id_z 0
		.amdhsa_system_sgpr_workgroup_info 0
		.amdhsa_system_vgpr_workitem_id 0
		.amdhsa_next_free_vgpr 256
		.amdhsa_next_free_sgpr 56
		.amdhsa_reserve_vcc 1
		.amdhsa_reserve_flat_scratch 0
		.amdhsa_float_round_mode_32 0
		.amdhsa_float_round_mode_16_64 0
		.amdhsa_float_denorm_mode_32 3
		.amdhsa_float_denorm_mode_16_64 3
		.amdhsa_dx10_clamp 1
		.amdhsa_ieee_mode 1
		.amdhsa_fp16_overflow 0
		.amdhsa_exception_fp_ieee_invalid_op 0
		.amdhsa_exception_fp_denorm_src 0
		.amdhsa_exception_fp_ieee_div_zero 0
		.amdhsa_exception_fp_ieee_overflow 0
		.amdhsa_exception_fp_ieee_underflow 0
		.amdhsa_exception_fp_ieee_inexact 0
		.amdhsa_exception_int_div_zero 0
	.end_amdhsa_kernel
	.text
.Lfunc_end0:
	.size	bluestein_single_back_len1053_dim1_dp_op_CI_CI, .Lfunc_end0-bluestein_single_back_len1053_dim1_dp_op_CI_CI
                                        ; -- End function
	.section	.AMDGPU.csdata,"",@progbits
; Kernel info:
; codeLenInByte = 19420
; NumSgprs: 60
; NumVgprs: 256
; ScratchSize: 460
; MemoryBound: 0
; FloatMode: 240
; IeeeMode: 1
; LDSByteSize: 16848 bytes/workgroup (compile time only)
; SGPRBlocks: 7
; VGPRBlocks: 63
; NumSGPRsForWavesPerEU: 60
; NumVGPRsForWavesPerEU: 256
; Occupancy: 1
; WaveLimiterHint : 1
; COMPUTE_PGM_RSRC2:SCRATCH_EN: 1
; COMPUTE_PGM_RSRC2:USER_SGPR: 6
; COMPUTE_PGM_RSRC2:TRAP_HANDLER: 0
; COMPUTE_PGM_RSRC2:TGID_X_EN: 1
; COMPUTE_PGM_RSRC2:TGID_Y_EN: 0
; COMPUTE_PGM_RSRC2:TGID_Z_EN: 0
; COMPUTE_PGM_RSRC2:TIDIG_COMP_CNT: 0
	.type	__hip_cuid_836a37bb8c1b1c44,@object ; @__hip_cuid_836a37bb8c1b1c44
	.section	.bss,"aw",@nobits
	.globl	__hip_cuid_836a37bb8c1b1c44
__hip_cuid_836a37bb8c1b1c44:
	.byte	0                               ; 0x0
	.size	__hip_cuid_836a37bb8c1b1c44, 1

	.ident	"AMD clang version 19.0.0git (https://github.com/RadeonOpenCompute/llvm-project roc-6.4.0 25133 c7fe45cf4b819c5991fe208aaa96edf142730f1d)"
	.section	".note.GNU-stack","",@progbits
	.addrsig
	.addrsig_sym __hip_cuid_836a37bb8c1b1c44
	.amdgpu_metadata
---
amdhsa.kernels:
  - .args:
      - .actual_access:  read_only
        .address_space:  global
        .offset:         0
        .size:           8
        .value_kind:     global_buffer
      - .actual_access:  read_only
        .address_space:  global
        .offset:         8
        .size:           8
        .value_kind:     global_buffer
      - .actual_access:  read_only
        .address_space:  global
        .offset:         16
        .size:           8
        .value_kind:     global_buffer
      - .actual_access:  read_only
        .address_space:  global
        .offset:         24
        .size:           8
        .value_kind:     global_buffer
      - .actual_access:  read_only
        .address_space:  global
        .offset:         32
        .size:           8
        .value_kind:     global_buffer
      - .offset:         40
        .size:           8
        .value_kind:     by_value
      - .address_space:  global
        .offset:         48
        .size:           8
        .value_kind:     global_buffer
      - .address_space:  global
        .offset:         56
        .size:           8
        .value_kind:     global_buffer
      - .address_space:  global
        .offset:         64
        .size:           8
        .value_kind:     global_buffer
      - .address_space:  global
        .offset:         72
        .size:           8
        .value_kind:     global_buffer
      - .offset:         80
        .size:           4
        .value_kind:     by_value
      - .address_space:  global
        .offset:         88
        .size:           8
        .value_kind:     global_buffer
      - .address_space:  global
        .offset:         96
        .size:           8
        .value_kind:     global_buffer
    .group_segment_fixed_size: 16848
    .kernarg_segment_align: 8
    .kernarg_segment_size: 104
    .language:       OpenCL C
    .language_version:
      - 2
      - 0
    .max_flat_workgroup_size: 117
    .name:           bluestein_single_back_len1053_dim1_dp_op_CI_CI
    .private_segment_fixed_size: 460
    .sgpr_count:     60
    .sgpr_spill_count: 0
    .symbol:         bluestein_single_back_len1053_dim1_dp_op_CI_CI.kd
    .uniform_work_group_size: 1
    .uses_dynamic_stack: false
    .vgpr_count:     256
    .vgpr_spill_count: 114
    .wavefront_size: 64
amdhsa.target:   amdgcn-amd-amdhsa--gfx906
amdhsa.version:
  - 1
  - 2
...

	.end_amdgpu_metadata
